;; amdgpu-corpus repo=ROCm/rocFFT kind=compiled arch=gfx1030 opt=O3
	.text
	.amdgcn_target "amdgcn-amd-amdhsa--gfx1030"
	.amdhsa_code_object_version 6
	.protected	fft_rtc_fwd_len1872_factors_13_3_4_6_2_wgs_156_tpt_156_halfLds_dp_ip_CI_unitstride_sbrr_R2C_dirReg ; -- Begin function fft_rtc_fwd_len1872_factors_13_3_4_6_2_wgs_156_tpt_156_halfLds_dp_ip_CI_unitstride_sbrr_R2C_dirReg
	.globl	fft_rtc_fwd_len1872_factors_13_3_4_6_2_wgs_156_tpt_156_halfLds_dp_ip_CI_unitstride_sbrr_R2C_dirReg
	.p2align	8
	.type	fft_rtc_fwd_len1872_factors_13_3_4_6_2_wgs_156_tpt_156_halfLds_dp_ip_CI_unitstride_sbrr_R2C_dirReg,@function
fft_rtc_fwd_len1872_factors_13_3_4_6_2_wgs_156_tpt_156_halfLds_dp_ip_CI_unitstride_sbrr_R2C_dirReg: ; @fft_rtc_fwd_len1872_factors_13_3_4_6_2_wgs_156_tpt_156_halfLds_dp_ip_CI_unitstride_sbrr_R2C_dirReg
; %bb.0:
	s_clause 0x2
	s_load_dwordx4 s[8:11], s[4:5], 0x0
	s_load_dwordx2 s[2:3], s[4:5], 0x50
	s_load_dwordx2 s[12:13], s[4:5], 0x18
	v_mul_u32_u24_e32 v1, 0x1a5, v0
	v_mov_b32_e32 v3, 0
	v_add_nc_u32_sdwa v5, s6, v1 dst_sel:DWORD dst_unused:UNUSED_PAD src0_sel:DWORD src1_sel:WORD_1
	v_mov_b32_e32 v1, 0
	v_mov_b32_e32 v6, v3
	v_mov_b32_e32 v2, 0
	s_waitcnt lgkmcnt(0)
	v_cmp_lt_u64_e64 s0, s[10:11], 2
	s_and_b32 vcc_lo, exec_lo, s0
	s_cbranch_vccnz .LBB0_8
; %bb.1:
	s_load_dwordx2 s[0:1], s[4:5], 0x10
	v_mov_b32_e32 v1, 0
	s_add_u32 s6, s12, 8
	v_mov_b32_e32 v2, 0
	s_addc_u32 s7, s13, 0
	s_mov_b64 s[16:17], 1
	s_waitcnt lgkmcnt(0)
	s_add_u32 s14, s0, 8
	s_addc_u32 s15, s1, 0
.LBB0_2:                                ; =>This Inner Loop Header: Depth=1
	s_load_dwordx2 s[18:19], s[14:15], 0x0
                                        ; implicit-def: $vgpr7_vgpr8
	s_mov_b32 s0, exec_lo
	s_waitcnt lgkmcnt(0)
	v_or_b32_e32 v4, s19, v6
	v_cmpx_ne_u64_e32 0, v[3:4]
	s_xor_b32 s1, exec_lo, s0
	s_cbranch_execz .LBB0_4
; %bb.3:                                ;   in Loop: Header=BB0_2 Depth=1
	v_cvt_f32_u32_e32 v4, s18
	v_cvt_f32_u32_e32 v7, s19
	s_sub_u32 s0, 0, s18
	s_subb_u32 s20, 0, s19
	v_fmac_f32_e32 v4, 0x4f800000, v7
	v_rcp_f32_e32 v4, v4
	v_mul_f32_e32 v4, 0x5f7ffffc, v4
	v_mul_f32_e32 v7, 0x2f800000, v4
	v_trunc_f32_e32 v7, v7
	v_fmac_f32_e32 v4, 0xcf800000, v7
	v_cvt_u32_f32_e32 v7, v7
	v_cvt_u32_f32_e32 v4, v4
	v_mul_lo_u32 v8, s0, v7
	v_mul_hi_u32 v9, s0, v4
	v_mul_lo_u32 v10, s20, v4
	v_add_nc_u32_e32 v8, v9, v8
	v_mul_lo_u32 v9, s0, v4
	v_add_nc_u32_e32 v8, v8, v10
	v_mul_hi_u32 v10, v4, v9
	v_mul_lo_u32 v11, v4, v8
	v_mul_hi_u32 v12, v4, v8
	v_mul_hi_u32 v13, v7, v9
	v_mul_lo_u32 v9, v7, v9
	v_mul_hi_u32 v14, v7, v8
	v_mul_lo_u32 v8, v7, v8
	v_add_co_u32 v10, vcc_lo, v10, v11
	v_add_co_ci_u32_e32 v11, vcc_lo, 0, v12, vcc_lo
	v_add_co_u32 v9, vcc_lo, v10, v9
	v_add_co_ci_u32_e32 v9, vcc_lo, v11, v13, vcc_lo
	v_add_co_ci_u32_e32 v10, vcc_lo, 0, v14, vcc_lo
	v_add_co_u32 v8, vcc_lo, v9, v8
	v_add_co_ci_u32_e32 v9, vcc_lo, 0, v10, vcc_lo
	v_add_co_u32 v4, vcc_lo, v4, v8
	v_add_co_ci_u32_e32 v7, vcc_lo, v7, v9, vcc_lo
	v_mul_hi_u32 v8, s0, v4
	v_mul_lo_u32 v10, s20, v4
	v_mul_lo_u32 v9, s0, v7
	v_add_nc_u32_e32 v8, v8, v9
	v_mul_lo_u32 v9, s0, v4
	v_add_nc_u32_e32 v8, v8, v10
	v_mul_hi_u32 v10, v4, v9
	v_mul_lo_u32 v11, v4, v8
	v_mul_hi_u32 v12, v4, v8
	v_mul_hi_u32 v13, v7, v9
	v_mul_lo_u32 v9, v7, v9
	v_mul_hi_u32 v14, v7, v8
	v_mul_lo_u32 v8, v7, v8
	v_add_co_u32 v10, vcc_lo, v10, v11
	v_add_co_ci_u32_e32 v11, vcc_lo, 0, v12, vcc_lo
	v_add_co_u32 v9, vcc_lo, v10, v9
	v_add_co_ci_u32_e32 v9, vcc_lo, v11, v13, vcc_lo
	v_add_co_ci_u32_e32 v10, vcc_lo, 0, v14, vcc_lo
	v_add_co_u32 v8, vcc_lo, v9, v8
	v_add_co_ci_u32_e32 v9, vcc_lo, 0, v10, vcc_lo
	v_add_co_u32 v4, vcc_lo, v4, v8
	v_add_co_ci_u32_e32 v11, vcc_lo, v7, v9, vcc_lo
	v_mul_hi_u32 v13, v5, v4
	v_mad_u64_u32 v[9:10], null, v6, v4, 0
	v_mad_u64_u32 v[7:8], null, v5, v11, 0
	;; [unrolled: 1-line block ×3, first 2 shown]
	v_add_co_u32 v4, vcc_lo, v13, v7
	v_add_co_ci_u32_e32 v7, vcc_lo, 0, v8, vcc_lo
	v_add_co_u32 v4, vcc_lo, v4, v9
	v_add_co_ci_u32_e32 v4, vcc_lo, v7, v10, vcc_lo
	v_add_co_ci_u32_e32 v7, vcc_lo, 0, v12, vcc_lo
	v_add_co_u32 v4, vcc_lo, v4, v11
	v_add_co_ci_u32_e32 v9, vcc_lo, 0, v7, vcc_lo
	v_mul_lo_u32 v10, s19, v4
	v_mad_u64_u32 v[7:8], null, s18, v4, 0
	v_mul_lo_u32 v11, s18, v9
	v_sub_co_u32 v7, vcc_lo, v5, v7
	v_add3_u32 v8, v8, v11, v10
	v_sub_nc_u32_e32 v10, v6, v8
	v_subrev_co_ci_u32_e64 v10, s0, s19, v10, vcc_lo
	v_add_co_u32 v11, s0, v4, 2
	v_add_co_ci_u32_e64 v12, s0, 0, v9, s0
	v_sub_co_u32 v13, s0, v7, s18
	v_sub_co_ci_u32_e32 v8, vcc_lo, v6, v8, vcc_lo
	v_subrev_co_ci_u32_e64 v10, s0, 0, v10, s0
	v_cmp_le_u32_e32 vcc_lo, s18, v13
	v_cmp_eq_u32_e64 s0, s19, v8
	v_cndmask_b32_e64 v13, 0, -1, vcc_lo
	v_cmp_le_u32_e32 vcc_lo, s19, v10
	v_cndmask_b32_e64 v14, 0, -1, vcc_lo
	v_cmp_le_u32_e32 vcc_lo, s18, v7
	;; [unrolled: 2-line block ×3, first 2 shown]
	v_cndmask_b32_e64 v15, 0, -1, vcc_lo
	v_cmp_eq_u32_e32 vcc_lo, s19, v10
	v_cndmask_b32_e64 v7, v15, v7, s0
	v_cndmask_b32_e32 v10, v14, v13, vcc_lo
	v_add_co_u32 v13, vcc_lo, v4, 1
	v_add_co_ci_u32_e32 v14, vcc_lo, 0, v9, vcc_lo
	v_cmp_ne_u32_e32 vcc_lo, 0, v10
	v_cndmask_b32_e32 v8, v14, v12, vcc_lo
	v_cndmask_b32_e32 v10, v13, v11, vcc_lo
	v_cmp_ne_u32_e32 vcc_lo, 0, v7
	v_cndmask_b32_e32 v8, v9, v8, vcc_lo
	v_cndmask_b32_e32 v7, v4, v10, vcc_lo
.LBB0_4:                                ;   in Loop: Header=BB0_2 Depth=1
	s_andn2_saveexec_b32 s0, s1
	s_cbranch_execz .LBB0_6
; %bb.5:                                ;   in Loop: Header=BB0_2 Depth=1
	v_cvt_f32_u32_e32 v4, s18
	s_sub_i32 s1, 0, s18
	v_rcp_iflag_f32_e32 v4, v4
	v_mul_f32_e32 v4, 0x4f7ffffe, v4
	v_cvt_u32_f32_e32 v4, v4
	v_mul_lo_u32 v7, s1, v4
	v_mul_hi_u32 v7, v4, v7
	v_add_nc_u32_e32 v4, v4, v7
	v_mul_hi_u32 v4, v5, v4
	v_mul_lo_u32 v7, v4, s18
	v_add_nc_u32_e32 v8, 1, v4
	v_sub_nc_u32_e32 v7, v5, v7
	v_subrev_nc_u32_e32 v9, s18, v7
	v_cmp_le_u32_e32 vcc_lo, s18, v7
	v_cndmask_b32_e32 v7, v7, v9, vcc_lo
	v_cndmask_b32_e32 v4, v4, v8, vcc_lo
	v_cmp_le_u32_e32 vcc_lo, s18, v7
	v_add_nc_u32_e32 v8, 1, v4
	v_cndmask_b32_e32 v7, v4, v8, vcc_lo
	v_mov_b32_e32 v8, v3
.LBB0_6:                                ;   in Loop: Header=BB0_2 Depth=1
	s_or_b32 exec_lo, exec_lo, s0
	s_load_dwordx2 s[0:1], s[6:7], 0x0
	v_mul_lo_u32 v4, v8, s18
	v_mul_lo_u32 v11, v7, s19
	v_mad_u64_u32 v[9:10], null, v7, s18, 0
	s_add_u32 s16, s16, 1
	s_addc_u32 s17, s17, 0
	s_add_u32 s6, s6, 8
	s_addc_u32 s7, s7, 0
	;; [unrolled: 2-line block ×3, first 2 shown]
	v_add3_u32 v4, v10, v11, v4
	v_sub_co_u32 v5, vcc_lo, v5, v9
	v_sub_co_ci_u32_e32 v4, vcc_lo, v6, v4, vcc_lo
	s_waitcnt lgkmcnt(0)
	v_mul_lo_u32 v6, s1, v5
	v_mul_lo_u32 v4, s0, v4
	v_mad_u64_u32 v[1:2], null, s0, v5, v[1:2]
	v_cmp_ge_u64_e64 s0, s[16:17], s[10:11]
	s_and_b32 vcc_lo, exec_lo, s0
	v_add3_u32 v2, v6, v2, v4
	s_cbranch_vccnz .LBB0_9
; %bb.7:                                ;   in Loop: Header=BB0_2 Depth=1
	v_mov_b32_e32 v5, v7
	v_mov_b32_e32 v6, v8
	s_branch .LBB0_2
.LBB0_8:
	v_mov_b32_e32 v8, v6
	v_mov_b32_e32 v7, v5
.LBB0_9:
	s_lshl_b64 s[0:1], s[10:11], 3
	v_mul_hi_u32 v3, 0x1a41a42, v0
	s_add_u32 s0, s12, s0
	s_addc_u32 s1, s13, s1
	s_load_dwordx2 s[0:1], s[0:1], 0x0
	s_load_dwordx2 s[4:5], s[4:5], 0x20
	v_mul_u32_u24_e32 v3, 0x9c, v3
	v_sub_nc_u32_e32 v52, v0, v3
	v_lshl_add_u32 v68, v52, 4, 0
	s_waitcnt lgkmcnt(0)
	v_mul_lo_u32 v4, s0, v8
	v_mul_lo_u32 v5, s1, v7
	v_mad_u64_u32 v[1:2], null, s0, v7, v[1:2]
	v_cmp_gt_u64_e32 vcc_lo, s[4:5], v[7:8]
	v_add3_u32 v2, v5, v2, v4
	v_lshlrev_b64 v[54:55], 4, v[1:2]
	s_and_saveexec_b32 s1, vcc_lo
	s_cbranch_execz .LBB0_11
; %bb.10:
	v_mov_b32_e32 v53, 0
	v_add_co_u32 v2, s0, s2, v54
	v_add_co_ci_u32_e64 v3, s0, s3, v55, s0
	v_lshlrev_b64 v[0:1], 4, v[52:53]
	v_add_co_u32 v24, s0, v2, v0
	v_add_co_ci_u32_e64 v25, s0, v3, v1, s0
	v_add_co_u32 v4, s0, 0x800, v24
	v_add_co_ci_u32_e64 v5, s0, 0, v25, s0
	;; [unrolled: 2-line block ×12, first 2 shown]
	s_clause 0xb
	global_load_dwordx4 v[0:3], v[24:25], off
	global_load_dwordx4 v[4:7], v[4:5], off offset:448
	global_load_dwordx4 v[8:11], v[8:9], off offset:896
	;; [unrolled: 1-line block ×11, first 2 shown]
	s_waitcnt vmcnt(11)
	ds_write_b128 v68, v[0:3]
	s_waitcnt vmcnt(10)
	ds_write_b128 v68, v[4:7] offset:2496
	s_waitcnt vmcnt(9)
	ds_write_b128 v68, v[8:11] offset:4992
	;; [unrolled: 2-line block ×11, first 2 shown]
.LBB0_11:
	s_or_b32 exec_lo, exec_lo, s1
	s_waitcnt lgkmcnt(0)
	s_barrier
	buffer_gl0_inv
	ds_read_b128 v[0:3], v68
	ds_read_b128 v[36:39], v68 offset:2304
	ds_read_b128 v[24:27], v68 offset:4608
	;; [unrolled: 1-line block ×12, first 2 shown]
	s_mov_b32 s33, exec_lo
	s_waitcnt lgkmcnt(0)
	s_barrier
	buffer_gl0_inv
	v_cmpx_gt_u32_e32 0x90, v52
	s_cbranch_execz .LBB0_13
; %bb.12:
	v_add_f64 v[56:57], v[2:3], v[38:39]
	v_add_f64 v[58:59], v[0:1], v[36:37]
	v_add_f64 v[69:70], v[38:39], v[6:7]
	v_add_f64 v[71:72], v[38:39], -v[6:7]
	s_mov_b32 s0, 0x93053d00
	s_mov_b32 s4, 0x4bc48dbf
	;; [unrolled: 1-line block ×6, first 2 shown]
	v_add_f64 v[38:39], v[48:49], v[44:45]
	v_add_f64 v[77:78], v[36:37], -v[4:5]
	v_add_f64 v[81:82], v[36:37], v[4:5]
	s_mov_b32 s10, 0xe00740e9
	s_mov_b32 s12, 0x4267c47c
	;; [unrolled: 1-line block ×6, first 2 shown]
	v_add_f64 v[60:61], v[42:43], v[30:31]
	v_add_f64 v[66:67], v[18:19], v[14:15]
	s_mov_b32 s16, 0xd0032e0c
	v_add_f64 v[56:57], v[56:57], v[26:27]
	v_add_f64 v[58:59], v[58:59], v[24:25]
	v_mul_f64 v[79:80], v[69:70], s[0:1]
	v_mul_f64 v[83:84], v[71:72], s[6:7]
	s_mov_b32 s18, 0x24c2f84
	s_mov_b32 s17, 0xbfe7f3cc
	s_mov_b32 s19, 0x3fe5384d
	s_mov_b32 s23, 0xbfe5384d
	s_mov_b32 s22, s18
	v_add_f64 v[36:37], v[32:33], -v[20:21]
	s_mov_b32 s20, 0x1ea71119
	s_mov_b32 s26, 0x42a4c3d2
	;; [unrolled: 1-line block ×12, first 2 shown]
	v_add_f64 v[56:57], v[56:57], v[18:19]
	v_add_f64 v[58:59], v[58:59], v[16:17]
	s_mov_b32 s31, 0xbfedeba7
	v_fma_f64 v[87:88], v[81:82], s[0:1], v[83:84]
	s_mov_b32 s37, 0x3fbedb7d
	s_mov_b32 s41, 0xbfefc445
	;; [unrolled: 1-line block ×3, first 2 shown]
	v_mul_f64 v[93:94], v[69:70], s[28:29]
	v_mul_f64 v[101:102], v[69:70], s[36:37]
	;; [unrolled: 1-line block ×6, first 2 shown]
	s_mov_b32 s39, 0x3fefc445
	s_mov_b32 s38, s40
	v_fma_f64 v[83:84], v[81:82], s[0:1], -v[83:84]
	v_mad_u32_u24 v53, 0xc0, v52, v68
	v_add_f64 v[56:57], v[56:57], v[34:35]
	v_add_f64 v[58:59], v[58:59], v[32:33]
	;; [unrolled: 1-line block ×3, first 2 shown]
	v_fma_f64 v[119:120], v[77:78], s[38:39], v[101:102]
	v_fma_f64 v[121:122], v[81:82], s[36:37], v[103:104]
	;; [unrolled: 1-line block ×3, first 2 shown]
	v_fma_f64 v[103:104], v[81:82], s[36:37], -v[103:104]
	v_add_f64 v[83:84], v[0:1], v[83:84]
	v_add_f64 v[56:57], v[56:57], v[42:43]
	;; [unrolled: 1-line block ×3, first 2 shown]
	v_add_f64 v[42:43], v[42:43], -v[30:31]
	v_add_f64 v[119:120], v[2:3], v[119:120]
	v_add_f64 v[121:122], v[0:1], v[121:122]
	;; [unrolled: 1-line block ×6, first 2 shown]
	v_add_f64 v[56:57], v[48:49], -v[44:45]
	v_add_f64 v[48:49], v[40:41], -v[28:29]
	v_add_f64 v[40:41], v[40:41], v[28:29]
	v_add_f64 v[58:59], v[50:51], v[46:47]
	v_add_f64 v[50:51], v[50:51], -v[46:47]
	v_add_f64 v[73:74], v[62:63], v[46:47]
	v_add_f64 v[75:76], v[64:65], v[44:45]
	v_add_f64 v[62:63], v[26:27], v[10:11]
	v_add_f64 v[44:45], v[26:27], -v[10:11]
	v_add_f64 v[64:65], v[18:19], -v[14:15]
	v_add_f64 v[18:19], v[24:25], v[8:9]
	v_add_f64 v[46:47], v[34:35], v[22:23]
	v_add_f64 v[26:27], v[32:33], v[20:21]
	v_add_f64 v[34:35], v[34:35], -v[22:23]
	;; [unrolled: 5-line block ×3, first 2 shown]
	v_mul_f64 v[24:25], v[62:63], s[10:11]
	v_fma_f64 v[75:76], v[77:78], s[4:5], v[79:80]
	v_mul_f64 v[85:86], v[44:45], s[14:15]
	v_mul_f64 v[95:96], v[46:47], s[20:21]
	v_fma_f64 v[79:80], v[77:78], s[6:7], v[79:80]
	v_mul_f64 v[97:98], v[34:35], s[24:25]
	v_mul_f64 v[125:126], v[62:63], s[36:37]
	;; [unrolled: 1-line block ×3, first 2 shown]
	v_add_f64 v[22:23], v[30:31], v[22:23]
	v_add_f64 v[20:21], v[73:74], v[20:21]
	v_mul_f64 v[30:31], v[66:67], s[16:17]
	v_mul_f64 v[73:74], v[64:65], s[22:23]
	v_fma_f64 v[89:90], v[28:29], s[12:13], v[24:25]
	v_add_f64 v[75:76], v[2:3], v[75:76]
	v_fma_f64 v[91:92], v[18:19], s[10:11], v[85:86]
	v_fma_f64 v[115:116], v[36:37], s[26:27], v[95:96]
	v_add_f64 v[79:80], v[2:3], v[79:80]
	v_fma_f64 v[24:25], v[28:29], s[14:15], v[24:25]
	v_fma_f64 v[85:86], v[18:19], s[10:11], -v[85:86]
	v_fma_f64 v[95:96], v[36:37], s[24:25], v[95:96]
	v_add_f64 v[14:15], v[22:23], v[14:15]
	v_add_f64 v[12:13], v[20:21], v[12:13]
	v_fma_f64 v[99:100], v[32:33], s[18:19], v[30:31]
	v_mul_f64 v[20:21], v[69:70], s[16:17]
	v_mul_f64 v[22:23], v[71:72], s[22:23]
	v_add_f64 v[75:76], v[89:90], v[75:76]
	v_fma_f64 v[89:90], v[16:17], s[16:17], v[73:74]
	v_add_f64 v[87:88], v[91:92], v[87:88]
	v_mul_f64 v[91:92], v[71:72], s[30:31]
	v_mul_f64 v[69:70], v[69:70], s[10:11]
	;; [unrolled: 1-line block ×3, first 2 shown]
	v_add_f64 v[24:25], v[24:25], v[79:80]
	v_fma_f64 v[79:80], v[18:19], s[36:37], v[127:128]
	v_add_f64 v[83:84], v[85:86], v[83:84]
	v_mul_f64 v[85:86], v[44:45], s[18:19]
	v_fma_f64 v[30:31], v[32:33], s[22:23], v[30:31]
	v_fma_f64 v[73:74], v[16:17], s[16:17], -v[73:74]
	v_add_f64 v[10:11], v[14:15], v[10:11]
	v_add_f64 v[8:9], v[12:13], v[8:9]
	v_mul_f64 v[12:13], v[42:43], s[30:31]
	v_mul_f64 v[14:15], v[58:59], s[36:37]
	v_fma_f64 v[111:112], v[77:78], s[18:19], v[20:21]
	v_add_f64 v[75:76], v[99:100], v[75:76]
	v_fma_f64 v[99:100], v[26:27], s[20:21], v[97:98]
	v_add_f64 v[87:88], v[89:90], v[87:88]
	v_fma_f64 v[113:114], v[81:82], s[16:17], v[22:23]
	v_fma_f64 v[20:21], v[77:78], s[22:23], v[20:21]
	v_fma_f64 v[22:23], v[81:82], s[16:17], -v[22:23]
	v_fma_f64 v[89:90], v[77:78], s[34:35], v[93:94]
	v_fma_f64 v[117:118], v[81:82], s[28:29], v[91:92]
	v_fma_f64 v[93:94], v[77:78], s[30:31], v[93:94]
	v_fma_f64 v[91:92], v[81:82], s[28:29], -v[91:92]
	v_fma_f64 v[123:124], v[77:78], s[14:15], v[69:70]
	v_fma_f64 v[69:70], v[77:78], s[12:13], v[69:70]
	v_add_f64 v[24:25], v[30:31], v[24:25]
	v_add_f64 v[73:74], v[73:74], v[83:84]
	v_mul_f64 v[83:84], v[64:65], s[14:15]
	v_fma_f64 v[97:98], v[26:27], s[20:21], -v[97:98]
	v_add_f64 v[6:7], v[10:11], v[6:7]
	v_add_f64 v[4:5], v[8:9], v[4:5]
	v_fma_f64 v[8:9], v[77:78], s[24:25], v[105:106]
	v_fma_f64 v[10:11], v[81:82], s[20:21], v[107:108]
	;; [unrolled: 1-line block ×3, first 2 shown]
	v_fma_f64 v[107:108], v[81:82], s[20:21], -v[107:108]
	v_fma_f64 v[77:78], v[81:82], s[10:11], v[71:72]
	v_fma_f64 v[71:72], v[81:82], s[10:11], -v[71:72]
	v_fma_f64 v[81:82], v[48:49], s[34:35], v[109:110]
	v_add_f64 v[75:76], v[115:116], v[75:76]
	v_fma_f64 v[115:116], v[40:41], s[28:29], v[12:13]
	v_add_f64 v[87:88], v[99:100], v[87:88]
	v_mul_f64 v[99:100], v[50:51], s[38:39]
	v_add_f64 v[111:112], v[2:3], v[111:112]
	v_add_f64 v[113:114], v[0:1], v[113:114]
	;; [unrolled: 1-line block ×17, first 2 shown]
	v_mul_f64 v[95:96], v[60:61], s[10:11]
	v_add_f64 v[75:76], v[81:82], v[75:76]
	v_fma_f64 v[81:82], v[56:57], s[40:41], v[14:15]
	v_add_f64 v[87:88], v[115:116], v[87:88]
	v_fma_f64 v[115:116], v[38:39], s[36:37], v[99:100]
	v_add_f64 v[73:74], v[97:98], v[73:74]
	v_add_f64 v[79:80], v[79:80], v[113:114]
	v_mul_f64 v[97:98], v[42:43], s[14:15]
	v_fma_f64 v[109:110], v[48:49], s[30:31], v[109:110]
	v_fma_f64 v[12:13], v[40:41], s[28:29], -v[12:13]
	v_fma_f64 v[14:15], v[56:57], s[38:39], v[14:15]
	v_add_f64 v[2:3], v[81:82], v[75:76]
	v_mul_f64 v[75:76], v[62:63], s[16:17]
	v_add_f64 v[0:1], v[115:116], v[87:88]
	v_fma_f64 v[81:82], v[28:29], s[40:41], v[125:126]
	v_fma_f64 v[87:88], v[28:29], s[38:39], v[125:126]
	v_fma_f64 v[115:116], v[18:19], s[36:37], -v[127:128]
	v_add_f64 v[24:25], v[109:110], v[24:25]
	v_add_f64 v[12:13], v[12:13], v[73:74]
	v_fma_f64 v[113:114], v[28:29], s[22:23], v[75:76]
	v_fma_f64 v[75:76], v[28:29], s[18:19], v[75:76]
	v_add_f64 v[81:82], v[81:82], v[111:112]
	v_mul_f64 v[111:112], v[66:67], s[20:21]
	v_add_f64 v[20:21], v[87:88], v[20:21]
	v_fma_f64 v[87:88], v[18:19], s[16:17], v[85:86]
	v_add_f64 v[22:23], v[115:116], v[22:23]
	v_mul_f64 v[115:116], v[64:65], s[26:27]
	v_fma_f64 v[85:86], v[18:19], s[16:17], -v[85:86]
	v_add_f64 v[89:90], v[113:114], v[89:90]
	v_mul_f64 v[113:114], v[66:67], s[10:11]
	v_add_f64 v[75:76], v[75:76], v[93:94]
	v_mul_f64 v[93:94], v[44:45], s[6:7]
	v_add_f64 v[87:88], v[87:88], v[117:118]
	v_fma_f64 v[117:118], v[32:33], s[24:25], v[111:112]
	v_fma_f64 v[30:31], v[16:17], s[20:21], v[115:116]
	;; [unrolled: 1-line block ×3, first 2 shown]
	v_fma_f64 v[115:116], v[16:17], s[20:21], -v[115:116]
	v_add_f64 v[85:86], v[85:86], v[91:92]
	v_add_f64 v[81:82], v[117:118], v[81:82]
	v_mul_f64 v[117:118], v[46:47], s[0:1]
	v_add_f64 v[30:31], v[30:31], v[79:80]
	v_fma_f64 v[79:80], v[32:33], s[12:13], v[113:114]
	v_add_f64 v[20:21], v[111:112], v[20:21]
	v_fma_f64 v[111:112], v[16:17], s[10:11], v[83:84]
	v_add_f64 v[22:23], v[115:116], v[22:23]
	v_mul_f64 v[115:116], v[34:35], s[4:5]
	v_fma_f64 v[113:114], v[32:33], s[14:15], v[113:114]
	v_fma_f64 v[83:84], v[16:17], s[10:11], -v[83:84]
	v_add_f64 v[79:80], v[79:80], v[89:90]
	v_fma_f64 v[89:90], v[36:37], s[6:7], v[117:118]
	v_add_f64 v[87:88], v[111:112], v[87:88]
	v_fma_f64 v[117:118], v[36:37], s[4:5], v[117:118]
	v_fma_f64 v[111:112], v[26:27], s[0:1], v[115:116]
	v_fma_f64 v[115:116], v[26:27], s[0:1], -v[115:116]
	v_add_f64 v[75:76], v[113:114], v[75:76]
	v_mul_f64 v[113:114], v[64:65], s[34:35]
	v_add_f64 v[83:84], v[83:84], v[85:86]
	v_add_f64 v[81:82], v[89:90], v[81:82]
	v_mul_f64 v[89:90], v[46:47], s[36:37]
	v_add_f64 v[20:21], v[117:118], v[20:21]
	v_add_f64 v[30:31], v[111:112], v[30:31]
	v_mul_f64 v[111:112], v[34:35], s[40:41]
	v_fma_f64 v[117:118], v[48:49], s[12:13], v[95:96]
	v_add_f64 v[22:23], v[115:116], v[22:23]
	v_fma_f64 v[115:116], v[40:41], s[10:11], v[97:98]
	v_fma_f64 v[95:96], v[48:49], s[14:15], v[95:96]
	;; [unrolled: 1-line block ×5, first 2 shown]
	v_add_f64 v[81:82], v[117:118], v[81:82]
	v_mul_f64 v[117:118], v[60:61], s[0:1]
	v_add_f64 v[30:31], v[115:116], v[30:31]
	v_mul_f64 v[115:116], v[42:43], s[4:5]
	v_add_f64 v[20:21], v[95:96], v[20:21]
	v_fma_f64 v[95:96], v[40:41], s[10:11], -v[97:98]
	v_mul_f64 v[97:98], v[62:63], s[0:1]
	v_fma_f64 v[85:86], v[26:27], s[36:37], -v[111:112]
	v_mul_f64 v[111:112], v[66:67], s[0:1]
	v_add_f64 v[79:80], v[109:110], v[79:80]
	v_add_f64 v[75:76], v[89:90], v[75:76]
	v_mul_f64 v[89:90], v[44:45], s[30:31]
	v_add_f64 v[73:74], v[73:74], v[87:88]
	v_mul_f64 v[44:45], v[44:45], s[26:27]
	v_fma_f64 v[87:88], v[48:49], s[6:7], v[117:118]
	v_fma_f64 v[117:118], v[48:49], s[4:5], v[117:118]
	;; [unrolled: 1-line block ×3, first 2 shown]
	v_fma_f64 v[115:116], v[40:41], s[0:1], -v[115:116]
	v_add_f64 v[22:23], v[95:96], v[22:23]
	v_mul_f64 v[95:96], v[66:67], s[28:29]
	v_add_f64 v[83:84], v[85:86], v[83:84]
	v_fma_f64 v[85:86], v[32:33], s[4:5], v[111:112]
	v_mul_f64 v[66:67], v[66:67], s[36:37]
	v_fma_f64 v[111:112], v[32:33], s[6:7], v[111:112]
	v_add_f64 v[79:80], v[87:88], v[79:80]
	v_fma_f64 v[87:88], v[28:29], s[4:5], v[97:98]
	v_add_f64 v[73:74], v[109:110], v[73:74]
	v_fma_f64 v[109:110], v[18:19], s[0:1], v[93:94]
	v_fma_f64 v[97:98], v[28:29], s[6:7], v[97:98]
	v_fma_f64 v[93:94], v[18:19], s[0:1], -v[93:94]
	v_fma_f64 v[91:92], v[32:33], s[30:31], v[95:96]
	v_fma_f64 v[95:96], v[32:33], s[34:35], v[95:96]
	v_add_f64 v[75:76], v[117:118], v[75:76]
	v_mul_f64 v[117:118], v[64:65], s[6:7]
	v_mul_f64 v[64:65], v[64:65], s[40:41]
	v_add_f64 v[83:84], v[115:116], v[83:84]
	v_add_f64 v[87:88], v[87:88], v[119:120]
	v_mul_f64 v[119:120], v[46:47], s[10:11]
	v_add_f64 v[109:110], v[109:110], v[121:122]
	v_mul_f64 v[121:122], v[62:63], s[28:29]
	v_add_f64 v[97:98], v[97:98], v[101:102]
	v_fma_f64 v[101:102], v[16:17], s[28:29], v[113:114]
	v_add_f64 v[93:94], v[93:94], v[103:104]
	v_mul_f64 v[103:104], v[34:35], s[14:15]
	v_fma_f64 v[113:114], v[16:17], s[28:29], -v[113:114]
	v_mul_f64 v[62:63], v[62:63], s[20:21]
	v_add_f64 v[87:88], v[91:92], v[87:88]
	v_fma_f64 v[91:92], v[28:29], s[34:35], v[121:122]
	v_add_f64 v[95:96], v[95:96], v[97:98]
	v_add_f64 v[101:102], v[101:102], v[109:110]
	v_fma_f64 v[109:110], v[36:37], s[12:13], v[119:120]
	v_fma_f64 v[97:98], v[26:27], s[10:11], v[103:104]
	v_add_f64 v[93:94], v[113:114], v[93:94]
	v_fma_f64 v[103:104], v[26:27], s[10:11], -v[103:104]
	v_fma_f64 v[121:122], v[28:29], s[30:31], v[121:122]
	v_fma_f64 v[119:120], v[36:37], s[14:15], v[119:120]
	;; [unrolled: 1-line block ×3, first 2 shown]
	v_fma_f64 v[89:90], v[18:19], s[28:29], -v[89:90]
	v_add_f64 v[8:9], v[91:92], v[8:9]
	v_mul_f64 v[91:92], v[60:61], s[20:21]
	v_add_f64 v[87:88], v[109:110], v[87:88]
	v_mul_f64 v[109:110], v[42:43], s[26:27]
	;; [unrolled: 2-line block ×3, first 2 shown]
	v_add_f64 v[93:94], v[103:104], v[93:94]
	v_fma_f64 v[103:104], v[28:29], s[26:27], v[62:63]
	v_add_f64 v[105:106], v[121:122], v[105:106]
	v_fma_f64 v[121:122], v[18:19], s[20:21], -v[44:45]
	v_add_f64 v[95:96], v[119:120], v[95:96]
	v_add_f64 v[10:11], v[113:114], v[10:11]
	v_fma_f64 v[113:114], v[16:17], s[0:1], v[117:118]
	v_mul_f64 v[119:120], v[34:35], s[18:19]
	v_fma_f64 v[28:29], v[28:29], s[24:25], v[62:63]
	v_fma_f64 v[18:19], v[18:19], s[20:21], v[44:45]
	v_add_f64 v[89:90], v[89:90], v[107:108]
	v_mul_f64 v[44:45], v[60:61], s[36:37]
	v_fma_f64 v[117:118], v[16:17], s[0:1], -v[117:118]
	v_mul_f64 v[46:47], v[46:47], s[28:29]
	v_mul_f64 v[34:35], v[34:35], s[30:31]
	v_add_f64 v[8:9], v[85:86], v[8:9]
	v_fma_f64 v[85:86], v[48:49], s[24:25], v[91:92]
	v_fma_f64 v[91:92], v[48:49], s[26:27], v[91:92]
	v_mul_f64 v[60:61], v[60:61], s[16:17]
	v_fma_f64 v[62:63], v[40:41], s[20:21], v[109:110]
	v_fma_f64 v[109:110], v[40:41], s[20:21], -v[109:110]
	v_fma_f64 v[107:108], v[36:37], s[22:23], v[101:102]
	v_fma_f64 v[101:102], v[36:37], s[18:19], v[101:102]
	v_add_f64 v[69:70], v[103:104], v[69:70]
	v_fma_f64 v[103:104], v[32:33], s[40:41], v[66:67]
	v_add_f64 v[71:72], v[121:122], v[71:72]
	v_fma_f64 v[121:122], v[16:17], s[36:37], -v[64:65]
	v_add_f64 v[105:106], v[111:112], v[105:106]
	v_add_f64 v[10:11], v[113:114], v[10:11]
	v_fma_f64 v[113:114], v[26:27], s[16:17], v[119:120]
	v_mul_f64 v[111:112], v[42:43], s[38:39]
	v_fma_f64 v[32:33], v[32:33], s[38:39], v[66:67]
	v_add_f64 v[28:29], v[28:29], v[123:124]
	v_fma_f64 v[16:17], v[16:17], s[36:37], v[64:65]
	v_add_f64 v[18:19], v[18:19], v[77:78]
	v_add_f64 v[89:90], v[117:118], v[89:90]
	v_fma_f64 v[64:65], v[26:27], s[16:17], -v[119:120]
	v_fma_f64 v[77:78], v[36:37], s[30:31], v[46:47]
	v_add_f64 v[85:86], v[85:86], v[87:88]
	v_add_f64 v[66:67], v[91:92], v[95:96]
	v_fma_f64 v[87:88], v[48:49], s[40:41], v[44:45]
	v_mul_f64 v[42:43], v[42:43], s[22:23]
	v_add_f64 v[91:92], v[109:110], v[93:94]
	v_add_f64 v[8:9], v[107:108], v[8:9]
	v_fma_f64 v[93:94], v[26:27], s[28:29], -v[34:35]
	v_add_f64 v[62:63], v[62:63], v[97:98]
	v_add_f64 v[69:70], v[103:104], v[69:70]
	v_fma_f64 v[36:37], v[36:37], s[34:35], v[46:47]
	v_add_f64 v[71:72], v[121:122], v[71:72]
	v_fma_f64 v[26:27], v[26:27], s[28:29], v[34:35]
	v_add_f64 v[95:96], v[101:102], v[105:106]
	v_add_f64 v[10:11], v[113:114], v[10:11]
	v_fma_f64 v[97:98], v[40:41], s[36:37], v[111:112]
	v_mul_f64 v[101:102], v[58:59], s[28:29]
	v_add_f64 v[28:29], v[32:33], v[28:29]
	v_mul_f64 v[32:33], v[50:51], s[30:31]
	v_add_f64 v[16:17], v[16:17], v[18:19]
	v_fma_f64 v[46:47], v[38:39], s[36:37], -v[99:100]
	v_add_f64 v[18:19], v[64:65], v[89:90]
	v_fma_f64 v[34:35], v[40:41], s[36:37], -v[111:112]
	v_mul_f64 v[89:90], v[58:59], s[16:17]
	v_mul_f64 v[99:100], v[58:59], s[10:11]
	v_mul_f64 v[103:104], v[50:51], s[6:7]
	v_fma_f64 v[44:45], v[48:49], s[38:39], v[44:45]
	v_mul_f64 v[105:106], v[50:51], s[14:15]
	v_add_f64 v[87:88], v[87:88], v[8:9]
	v_mul_f64 v[8:9], v[58:59], s[20:21]
	v_mul_f64 v[58:59], v[58:59], s[0:1]
	v_add_f64 v[64:65], v[77:78], v[69:70]
	v_fma_f64 v[69:70], v[48:49], s[22:23], v[60:61]
	v_add_f64 v[71:72], v[93:94], v[71:72]
	v_fma_f64 v[93:94], v[40:41], s[16:17], -v[42:43]
	v_mul_f64 v[77:78], v[50:51], s[24:25]
	v_mul_f64 v[50:51], v[50:51], s[22:23]
	v_add_f64 v[97:98], v[97:98], v[10:11]
	v_fma_f64 v[10:11], v[48:49], s[18:19], v[60:61]
	v_add_f64 v[28:29], v[36:37], v[28:29]
	v_fma_f64 v[40:41], v[40:41], s[16:17], v[42:43]
	v_add_f64 v[16:17], v[26:27], v[16:17]
	v_fma_f64 v[107:108], v[56:57], s[34:35], v[101:102]
	v_fma_f64 v[48:49], v[38:39], s[28:29], v[32:33]
	v_fma_f64 v[36:37], v[56:57], s[30:31], v[101:102]
	v_fma_f64 v[26:27], v[38:39], s[28:29], -v[32:33]
	v_add_f64 v[42:43], v[34:35], v[18:19]
	v_fma_f64 v[101:102], v[38:39], s[0:1], -v[103:104]
	v_add_f64 v[44:45], v[44:45], v[95:96]
	v_fma_f64 v[95:96], v[56:57], s[14:15], v[99:100]
	v_fma_f64 v[109:110], v[38:39], s[10:11], -v[105:106]
	v_fma_f64 v[34:35], v[56:57], s[24:25], v[8:9]
	v_fma_f64 v[60:61], v[56:57], s[26:27], v[8:9]
	;; [unrolled: 1-line block ×3, first 2 shown]
	v_add_f64 v[32:33], v[69:70], v[64:65]
	v_fma_f64 v[69:70], v[56:57], s[22:23], v[89:90]
	v_add_f64 v[71:72], v[93:94], v[71:72]
	v_fma_f64 v[93:94], v[56:57], s[6:7], v[58:59]
	v_fma_f64 v[111:112], v[38:39], s[16:17], -v[50:51]
	v_fma_f64 v[64:65], v[38:39], s[20:21], v[77:78]
	v_fma_f64 v[77:78], v[38:39], s[20:21], -v[77:78]
	v_fma_f64 v[89:90], v[56:57], s[18:19], v[89:90]
	v_fma_f64 v[50:51], v[38:39], s[16:17], v[50:51]
	;; [unrolled: 1-line block ×4, first 2 shown]
	v_add_f64 v[58:59], v[10:11], v[28:29]
	v_fma_f64 v[103:104], v[38:39], s[0:1], v[103:104]
	v_add_f64 v[113:114], v[40:41], v[16:17]
	v_add_f64 v[16:17], v[26:27], v[22:23]
	v_add_f64 v[8:9], v[46:47], v[12:13]
	v_add_f64 v[12:13], v[48:49], v[30:31]
	v_add_f64 v[30:31], v[95:96], v[44:45]
	v_add_f64 v[28:29], v[109:110], v[42:43]
	v_add_f64 v[22:23], v[34:35], v[75:76]
	v_add_f64 v[10:11], v[14:15], v[24:25]
	v_add_f64 v[18:19], v[36:37], v[20:21]
	v_add_f64 v[14:15], v[107:108], v[81:82]
	v_add_f64 v[26:27], v[69:70], v[66:67]
	v_add_f64 v[38:39], v[60:61], v[79:80]
	v_add_f64 v[34:35], v[93:94], v[32:33]
	v_add_f64 v[32:33], v[101:102], v[71:72]
	v_add_f64 v[24:25], v[111:112], v[91:92]
	v_add_f64 v[20:21], v[77:78], v[83:84]
	v_add_f64 v[36:37], v[64:65], v[73:74]
	v_add_f64 v[42:43], v[89:90], v[85:86]
	v_add_f64 v[40:41], v[50:51], v[62:63]
	v_add_f64 v[46:47], v[99:100], v[87:88]
	v_add_f64 v[44:45], v[105:106], v[97:98]
	v_add_f64 v[50:51], v[56:57], v[58:59]
	v_add_f64 v[48:49], v[103:104], v[113:114]
	ds_write_b128 v53, v[4:7]
	ds_write_b128 v53, v[32:35] offset:16
	ds_write_b128 v53, v[28:31] offset:32
	ds_write_b128 v53, v[24:27] offset:48
	ds_write_b128 v53, v[20:23] offset:64
	ds_write_b128 v53, v[16:19] offset:80
	ds_write_b128 v53, v[8:11] offset:96
	ds_write_b128 v53, v[0:3] offset:112
	ds_write_b128 v53, v[12:15] offset:128
	ds_write_b128 v53, v[36:39] offset:144
	ds_write_b128 v53, v[40:43] offset:160
	ds_write_b128 v53, v[44:47] offset:176
	ds_write_b128 v53, v[48:51] offset:192
.LBB0_13:
	s_or_b32 exec_lo, exec_lo, s33
	v_and_b32_e32 v17, 0xff, v52
	v_add_nc_u32_e32 v16, 0x9c, v52
	v_mov_b32_e32 v2, 5
	v_add_nc_u32_e32 v19, 0x138, v52
	v_add_nc_u32_e32 v18, 0x1d4, v52
	v_mul_lo_u16 v0, 0x4f, v17
	s_waitcnt lgkmcnt(0)
	s_barrier
	buffer_gl0_inv
	v_mov_b32_e32 v93, 0xa41b
	v_lshrrev_b16 v20, 10, v0
	v_mov_b32_e32 v0, 0x4ec5
	v_mul_lo_u16 v17, 0xa5, v17
	v_mov_b32_e32 v95, 0x270
	v_mul_u32_u24_sdwa v96, v16, v93 dst_sel:DWORD dst_unused:UNUSED_PAD src0_sel:WORD_0 src1_sel:DWORD
	v_mul_lo_u16 v1, v20, 13
	v_mul_u32_u24_sdwa v3, v16, v0 dst_sel:DWORD dst_unused:UNUSED_PAD src0_sel:WORD_0 src1_sel:DWORD
	v_mul_u32_u24_sdwa v97, v19, v93 dst_sel:DWORD dst_unused:UNUSED_PAD src0_sel:WORD_0 src1_sel:DWORD
	v_lshrrev_b16 v106, 8, v17
	v_lshrrev_b32_e32 v108, 16, v96
	v_sub_nc_u16 v21, v52, v1
	v_lshrrev_b32_e32 v53, 18, v3
	v_mul_u32_u24_sdwa v1, v19, v0 dst_sel:DWORD dst_unused:UNUSED_PAD src0_sel:WORD_0 src1_sel:DWORD
	v_mul_u32_u24_sdwa v0, v18, v0 dst_sel:DWORD dst_unused:UNUSED_PAD src0_sel:WORD_0 src1_sel:DWORD
	v_sub_nc_u16 v98, v52, v106
	v_lshlrev_b32_sdwa v3, v2, v21 dst_sel:DWORD dst_unused:UNUSED_PAD src0_sel:DWORD src1_sel:BYTE_0
	v_lshrrev_b32_e32 v109, 16, v97
	v_lshrrev_b32_e32 v101, 18, v1
	v_mul_lo_u16 v1, v53, 13
	v_lshrrev_b32_e32 v102, 18, v0
	s_clause 0x1
	global_load_dwordx4 v[22:25], v3, s[8:9]
	global_load_dwordx4 v[26:29], v3, s[8:9] offset:16
	v_mul_lo_u16 v0, v101, 13
	v_sub_nc_u16 v103, v16, v1
	v_mul_lo_u16 v1, v102, 13
	v_lshrrev_b16 v98, 1, v98
	v_mul_u32_u24_sdwa v110, v20, v95 dst_sel:DWORD dst_unused:UNUSED_PAD src0_sel:WORD_0 src1_sel:DWORD
	v_sub_nc_u16 v104, v19, v0
	v_lshlrev_b32_sdwa v0, v2, v103 dst_sel:DWORD dst_unused:UNUSED_PAD src0_sel:DWORD src1_sel:WORD_0
	v_sub_nc_u16 v105, v18, v1
	v_and_b32_e32 v20, 0x7f, v98
	v_mov_b32_e32 v17, 4
	v_lshlrev_b32_sdwa v1, v2, v104 dst_sel:DWORD dst_unused:UNUSED_PAD src0_sel:DWORD src1_sel:WORD_0
	s_clause 0x2
	global_load_dwordx4 v[30:33], v0, s[8:9]
	global_load_dwordx4 v[34:37], v0, s[8:9] offset:16
	global_load_dwordx4 v[38:41], v1, s[8:9]
	v_lshlrev_b32_sdwa v0, v2, v105 dst_sel:DWORD dst_unused:UNUSED_PAD src0_sel:DWORD src1_sel:WORD_0
	s_clause 0x2
	global_load_dwordx4 v[42:45], v1, s[8:9] offset:16
	global_load_dwordx4 v[46:49], v0, s[8:9]
	global_load_dwordx4 v[56:59], v0, s[8:9] offset:16
	ds_read_b128 v[60:63], v68 offset:9984
	ds_read_b128 v[12:15], v68
	ds_read_b128 v[4:7], v68 offset:2496
	ds_read_b128 v[64:67], v68 offset:12480
	ds_read_b128 v[69:72], v68 offset:19968
	ds_read_b128 v[73:76], v68 offset:22464
	ds_read_b128 v[8:11], v68 offset:4992
	ds_read_b128 v[0:3], v68 offset:7488
	ds_read_b128 v[77:80], v68 offset:14976
	ds_read_b128 v[81:84], v68 offset:17472
	ds_read_b128 v[85:88], v68 offset:24960
	ds_read_b128 v[89:92], v68 offset:27456
	v_add_nc_u16 v20, v20, v106
	v_lshlrev_b32_sdwa v106, v17, v21 dst_sel:DWORD dst_unused:UNUSED_PAD src0_sel:DWORD src1_sel:BYTE_0
	s_mov_b32 s6, 0xe8584caa
	s_mov_b32 s7, 0x3febb67a
	;; [unrolled: 1-line block ×4, first 2 shown]
	v_mov_b32_e32 v107, 3
	v_mul_u32_u24_e32 v101, 0x270, v101
	v_mul_u32_u24_e32 v53, 0x270, v53
	v_lshlrev_b32_sdwa v103, v17, v103 dst_sel:DWORD dst_unused:UNUSED_PAD src0_sel:DWORD src1_sel:WORD_0
	v_mul_u32_u24_e32 v102, 0x270, v102
	s_waitcnt vmcnt(0) lgkmcnt(0)
	s_barrier
	buffer_gl0_inv
	v_add3_u32 v53, 0, v53, v103
	s_add_u32 s1, s8, 0x7430
	v_mul_f64 v[50:51], v[62:63], v[24:25]
	v_mul_f64 v[24:25], v[60:61], v[24:25]
	;; [unrolled: 1-line block ×10, first 2 shown]
	v_fma_f64 v[50:51], v[60:61], v[22:23], -v[50:51]
	v_fma_f64 v[22:23], v[62:63], v[22:23], v[24:25]
	v_mul_f64 v[24:25], v[87:88], v[44:45]
	v_mul_f64 v[44:45], v[85:86], v[44:45]
	;; [unrolled: 1-line block ×4, first 2 shown]
	v_fma_f64 v[69:70], v[69:70], v[26:27], -v[93:94]
	v_fma_f64 v[26:27], v[71:72], v[26:27], v[28:29]
	v_mul_f64 v[28:29], v[81:82], v[48:49]
	v_mul_f64 v[48:49], v[89:90], v[58:59]
	v_sub_nc_u16 v58, v16, v108
	v_sub_nc_u16 v59, v19, v109
	v_lshrrev_b16 v93, 5, v20
	v_fma_f64 v[20:21], v[64:65], v[30:31], -v[95:96]
	v_fma_f64 v[30:31], v[66:67], v[30:31], v[32:33]
	v_lshrrev_b16 v71, 1, v58
	v_lshrrev_b16 v72, 1, v59
	v_fma_f64 v[58:59], v[73:74], v[34:35], -v[97:98]
	v_fma_f64 v[32:33], v[75:76], v[34:35], v[36:37]
	v_fma_f64 v[34:35], v[77:78], v[38:39], -v[99:100]
	v_fma_f64 v[36:37], v[79:80], v[38:39], v[40:41]
	v_lshlrev_b32_sdwa v97, v17, v104 dst_sel:DWORD dst_unused:UNUSED_PAD src0_sel:DWORD src1_sel:WORD_0
	v_and_b32_e32 v104, 7, v93
	v_lshlrev_b32_sdwa v98, v17, v105 dst_sel:DWORD dst_unused:UNUSED_PAD src0_sel:DWORD src1_sel:WORD_0
	v_fma_f64 v[24:25], v[85:86], v[42:43], -v[24:25]
	v_fma_f64 v[38:39], v[87:88], v[42:43], v[44:45]
	v_fma_f64 v[40:41], v[81:82], v[46:47], -v[60:61]
	v_fma_f64 v[42:43], v[89:90], v[56:57], -v[62:63]
	v_add_nc_u16 v60, v71, v108
	v_mul_lo_u16 v62, v104, 39
	v_fma_f64 v[28:29], v[83:84], v[46:47], v[28:29]
	v_fma_f64 v[44:45], v[91:92], v[56:57], v[48:49]
	v_add_f64 v[46:47], v[50:51], v[69:70]
	v_add_f64 v[48:49], v[22:23], v[26:27]
	v_lshrrev_b16 v105, 5, v60
	v_sub_nc_u16 v108, v52, v62
	v_add_f64 v[64:65], v[12:13], v[50:51]
	v_add_nc_u16 v99, v72, v109
	v_add_f64 v[71:72], v[22:23], -v[26:27]
	v_add_f64 v[56:57], v[20:21], v[58:59]
	v_add_f64 v[60:61], v[30:31], v[32:33]
	v_add_f64 v[22:23], v[14:15], v[22:23]
	v_add_f64 v[50:51], v[50:51], -v[69:70]
	v_add_f64 v[81:82], v[8:9], v[34:35]
	v_add_f64 v[77:78], v[4:5], v[20:21]
	;; [unrolled: 1-line block ×7, first 2 shown]
	v_add_f64 v[30:31], v[30:31], -v[32:33]
	v_add_f64 v[89:90], v[20:21], -v[58:59]
	;; [unrolled: 1-line block ×3, first 2 shown]
	v_add_f64 v[75:76], v[28:29], v[44:45]
	v_fma_f64 v[46:47], v[46:47], -0.5, v[12:13]
	v_fma_f64 v[48:49], v[48:49], -0.5, v[14:15]
	v_add_f64 v[85:86], v[0:1], v[40:41]
	v_add_f64 v[87:88], v[2:3], v[28:29]
	v_add_f64 v[93:94], v[28:29], -v[44:45]
	v_add_f64 v[95:96], v[40:41], -v[42:43]
	v_lshrrev_b16 v103, 5, v99
	v_fma_f64 v[56:57], v[56:57], -0.5, v[4:5]
	v_fma_f64 v[36:37], v[60:61], -0.5, v[6:7]
	v_add_f64 v[60:61], v[34:35], -v[24:25]
	v_add_f64 v[4:5], v[77:78], v[58:59]
	v_add_f64 v[6:7], v[79:80], v[32:33]
	v_fma_f64 v[62:63], v[62:63], -0.5, v[8:9]
	v_fma_f64 v[66:67], v[66:67], -0.5, v[10:11]
	v_add_f64 v[8:9], v[81:82], v[24:25]
	v_fma_f64 v[73:74], v[73:74], -0.5, v[0:1]
	v_add_f64 v[0:1], v[64:65], v[69:70]
	v_add_f64 v[10:11], v[83:84], v[38:39]
	v_mul_u32_u24_sdwa v58, v108, v107 dst_sel:DWORD dst_unused:UNUSED_PAD src0_sel:BYTE_0 src1_sel:DWORD
	v_fma_f64 v[64:65], v[75:76], -0.5, v[2:3]
	v_add_f64 v[2:3], v[22:23], v[26:27]
	v_fma_f64 v[20:21], v[71:72], s[6:7], v[46:47]
	v_fma_f64 v[22:23], v[50:51], s[4:5], v[48:49]
	;; [unrolled: 1-line block ×4, first 2 shown]
	v_add_f64 v[12:13], v[85:86], v[42:43]
	v_add_f64 v[14:15], v[87:88], v[44:45]
	v_fma_f64 v[28:29], v[30:31], s[6:7], v[56:57]
	v_fma_f64 v[32:33], v[30:31], s[4:5], v[56:57]
	;; [unrolled: 1-line block ×4, first 2 shown]
	v_mul_lo_u16 v57, v105, 39
	v_add3_u32 v56, 0, v110, v106
	v_add3_u32 v59, 0, v101, v97
	v_fma_f64 v[36:37], v[91:92], s[6:7], v[62:63]
	v_fma_f64 v[38:39], v[60:61], s[4:5], v[66:67]
	v_fma_f64 v[40:41], v[91:92], s[4:5], v[62:63]
	v_fma_f64 v[42:43], v[60:61], s[6:7], v[66:67]
	v_fma_f64 v[44:45], v[93:94], s[6:7], v[73:74]
	v_fma_f64 v[48:49], v[93:94], s[4:5], v[73:74]
	v_sub_nc_u16 v101, v16, v57
	v_fma_f64 v[46:47], v[95:96], s[4:5], v[64:65]
	v_fma_f64 v[50:51], v[95:96], s[6:7], v[64:65]
	v_lshlrev_b32_e32 v57, 4, v58
	v_add3_u32 v60, 0, v102, v98
	v_mul_lo_u16 v61, v103, 39
	ds_write_b128 v56, v[0:3]
	ds_write_b128 v56, v[20:23] offset:208
	ds_write_b128 v56, v[24:27] offset:416
	ds_write_b128 v53, v[4:7]
	ds_write_b128 v53, v[28:31] offset:208
	ds_write_b128 v53, v[32:35] offset:416
	;; [unrolled: 3-line block ×4, first 2 shown]
	s_waitcnt lgkmcnt(0)
	s_barrier
	buffer_gl0_inv
	global_load_dwordx4 v[0:3], v57, s[8:9] offset:416
	v_sub_nc_u16 v53, v19, v61
	v_mul_u32_u24_sdwa v4, v101, v107 dst_sel:DWORD dst_unused:UNUSED_PAD src0_sel:WORD_0 src1_sel:DWORD
	v_mul_u32_u24_sdwa v20, v53, v107 dst_sel:DWORD dst_unused:UNUSED_PAD src0_sel:WORD_0 src1_sel:DWORD
	v_lshlrev_b32_e32 v24, 4, v4
	s_clause 0x2
	global_load_dwordx4 v[4:7], v57, s[8:9] offset:432
	global_load_dwordx4 v[8:11], v57, s[8:9] offset:448
	global_load_dwordx4 v[12:15], v24, s[8:9] offset:416
	v_lshlrev_b32_e32 v36, 4, v20
	s_clause 0x4
	global_load_dwordx4 v[20:23], v24, s[8:9] offset:432
	global_load_dwordx4 v[24:27], v24, s[8:9] offset:448
	global_load_dwordx4 v[28:31], v36, s[8:9] offset:416
	global_load_dwordx4 v[32:35], v36, s[8:9] offset:432
	global_load_dwordx4 v[36:39], v36, s[8:9] offset:448
	ds_read_b128 v[40:43], v68 offset:7488
	ds_read_b128 v[44:47], v68 offset:14976
	;; [unrolled: 1-line block ×10, first 2 shown]
	v_lshlrev_b32_sdwa v53, v17, v53 dst_sel:DWORD dst_unused:UNUSED_PAD src0_sel:DWORD src1_sel:WORD_0
	s_waitcnt vmcnt(8) lgkmcnt(9)
	v_mul_f64 v[85:86], v[42:43], v[2:3]
	v_mul_f64 v[2:3], v[40:41], v[2:3]
	s_waitcnt vmcnt(7) lgkmcnt(8)
	v_mul_f64 v[87:88], v[46:47], v[6:7]
	v_mul_f64 v[6:7], v[44:45], v[6:7]
	;; [unrolled: 3-line block ×8, first 2 shown]
	v_fma_f64 v[40:41], v[40:41], v[0:1], -v[85:86]
	s_waitcnt vmcnt(0) lgkmcnt(0)
	v_mul_f64 v[85:86], v[83:84], v[38:39]
	v_mul_f64 v[38:39], v[81:82], v[38:39]
	v_fma_f64 v[42:43], v[42:43], v[0:1], v[2:3]
	v_fma_f64 v[44:45], v[44:45], v[4:5], -v[87:88]
	v_fma_f64 v[46:47], v[46:47], v[4:5], v[6:7]
	v_fma_f64 v[48:49], v[48:49], v[8:9], -v[89:90]
	;; [unrolled: 2-line block ×5, first 2 shown]
	v_fma_f64 v[24:25], v[66:67], v[24:25], v[26:27]
	ds_read_b128 v[0:3], v68
	ds_read_b128 v[4:7], v68 offset:2496
	v_fma_f64 v[26:27], v[73:74], v[28:29], -v[97:98]
	v_fma_f64 v[28:29], v[75:76], v[28:29], v[30:31]
	v_fma_f64 v[30:31], v[77:78], v[32:33], -v[99:100]
	v_fma_f64 v[32:33], v[79:80], v[32:33], v[34:35]
	;; [unrolled: 2-line block ×3, first 2 shown]
	v_lshlrev_b32_sdwa v74, v17, v101 dst_sel:DWORD dst_unused:UNUSED_PAD src0_sel:DWORD src1_sel:WORD_0
	v_lshlrev_b32_sdwa v17, v17, v108 dst_sel:DWORD dst_unused:UNUSED_PAD src0_sel:DWORD src1_sel:BYTE_0
	s_waitcnt lgkmcnt(0)
	s_barrier
	buffer_gl0_inv
	v_add_f64 v[8:9], v[42:43], -v[8:9]
	v_add_f64 v[38:39], v[0:1], -v[44:45]
	;; [unrolled: 1-line block ×12, first 2 shown]
	v_fma_f64 v[32:33], v[42:43], 2.0, -v[8:9]
	v_fma_f64 v[34:35], v[0:1], 2.0, -v[38:39]
	;; [unrolled: 1-line block ×12, first 2 shown]
	v_mul_u32_u24_e32 v0, 5, v52
	v_add_f64 v[2:3], v[44:45], v[46:47]
	v_add_f64 v[6:7], v[50:51], v[14:15]
	v_add_f64 v[4:5], v[48:49], -v[20:21]
	v_add_f64 v[10:11], v[58:59], v[22:23]
	v_lshlrev_b32_e32 v69, 4, v0
	v_add_f64 v[0:1], v[38:39], -v[8:9]
	v_add_f64 v[8:9], v[56:57], -v[24:25]
	v_add_co_u32 v69, s0, s8, v69
	v_add_f64 v[14:15], v[60:61], -v[32:33]
	v_add_f64 v[12:13], v[34:35], -v[30:31]
	v_add_co_ci_u32_e64 v70, null, s9, 0, s0
	v_add_f64 v[20:21], v[40:41], -v[36:37]
	v_add_f64 v[22:23], v[42:43], -v[62:63]
	v_add_co_u32 v62, s0, 0x8f0, v69
	v_add_f64 v[24:25], v[64:65], -v[26:27]
	v_add_f64 v[26:27], v[66:67], -v[28:29]
	v_mov_b32_e32 v28, 0x9c0
	v_fma_f64 v[30:31], v[44:45], 2.0, -v[2:3]
	v_add_co_ci_u32_e64 v63, s0, 0, v70, s0
	v_fma_f64 v[32:33], v[48:49], 2.0, -v[4:5]
	v_mul_u32_u24_sdwa v71, v105, v28 dst_sel:DWORD dst_unused:UNUSED_PAD src0_sel:WORD_0 src1_sel:DWORD
	v_mul_u32_u24_sdwa v72, v103, v28 dst_sel:DWORD dst_unused:UNUSED_PAD src0_sel:WORD_0 src1_sel:DWORD
	;; [unrolled: 1-line block ×3, first 2 shown]
	v_fma_f64 v[28:29], v[38:39], 2.0, -v[0:1]
	v_fma_f64 v[44:45], v[56:57], 2.0, -v[8:9]
	;; [unrolled: 1-line block ×3, first 2 shown]
	v_add_co_u32 v56, s0, 0x800, v69
	v_fma_f64 v[36:37], v[34:35], 2.0, -v[12:13]
	v_fma_f64 v[38:39], v[60:61], 2.0, -v[14:15]
	;; [unrolled: 1-line block ×5, first 2 shown]
	v_add3_u32 v17, 0, v73, v17
	v_add_co_ci_u32_e64 v57, s0, 0, v70, s0
	v_fma_f64 v[48:49], v[64:65], 2.0, -v[24:25]
	v_fma_f64 v[50:51], v[66:67], 2.0, -v[26:27]
	v_add3_u32 v58, 0, v71, v74
	v_add3_u32 v53, 0, v72, v53
	ds_write_b128 v17, v[0:3] offset:1872
	ds_write_b128 v17, v[28:31] offset:624
	;; [unrolled: 1-line block ×3, first 2 shown]
	ds_write_b128 v17, v[36:39]
	ds_write_b128 v58, v[40:43]
	ds_write_b128 v58, v[32:35] offset:624
	ds_write_b128 v58, v[20:23] offset:1248
	;; [unrolled: 1-line block ×3, first 2 shown]
	ds_write_b128 v53, v[48:51]
	ds_write_b128 v53, v[44:47] offset:624
	ds_write_b128 v53, v[24:27] offset:1248
	;; [unrolled: 1-line block ×3, first 2 shown]
	s_waitcnt lgkmcnt(0)
	s_barrier
	buffer_gl0_inv
	s_clause 0x4
	global_load_dwordx4 v[0:3], v[62:63], off offset:32
	global_load_dwordx4 v[4:7], v[56:57], off offset:304
	;; [unrolled: 1-line block ×5, first 2 shown]
	ds_read_b128 v[28:31], v68 offset:14976
	ds_read_b128 v[32:35], v68 offset:24960
	;; [unrolled: 1-line block ×10, first 2 shown]
	v_mov_b32_e32 v53, 0
	s_waitcnt vmcnt(4) lgkmcnt(9)
	v_mul_f64 v[8:9], v[30:31], v[2:3]
	v_mul_f64 v[14:15], v[28:29], v[2:3]
	s_waitcnt vmcnt(3) lgkmcnt(8)
	v_mul_f64 v[73:74], v[32:33], v[6:7]
	v_mul_f64 v[75:76], v[34:35], v[6:7]
	s_waitcnt lgkmcnt(7)
	v_mul_f64 v[77:78], v[38:39], v[2:3]
	v_mul_f64 v[2:3], v[36:37], v[2:3]
	s_waitcnt lgkmcnt(6)
	v_mul_f64 v[79:80], v[42:43], v[6:7]
	v_mul_f64 v[6:7], v[40:41], v[6:7]
	s_waitcnt vmcnt(2) lgkmcnt(5)
	v_mul_f64 v[81:82], v[46:47], v[12:13]
	v_mul_f64 v[83:84], v[44:45], v[12:13]
	s_waitcnt lgkmcnt(4)
	v_mul_f64 v[85:86], v[50:51], v[12:13]
	v_mul_f64 v[12:13], v[48:49], v[12:13]
	v_fma_f64 v[28:29], v[28:29], v[0:1], -v[8:9]
	v_fma_f64 v[14:15], v[30:31], v[0:1], v[14:15]
	v_fma_f64 v[30:31], v[34:35], v[4:5], v[73:74]
	v_fma_f64 v[32:33], v[32:33], v[4:5], -v[75:76]
	v_fma_f64 v[34:35], v[36:37], v[0:1], -v[77:78]
	v_fma_f64 v[36:37], v[38:39], v[0:1], v[2:3]
	v_fma_f64 v[38:39], v[40:41], v[4:5], -v[79:80]
	v_fma_f64 v[40:41], v[42:43], v[4:5], v[6:7]
	s_waitcnt vmcnt(1) lgkmcnt(3)
	v_mul_f64 v[4:5], v[58:59], v[22:23]
	v_mul_f64 v[6:7], v[56:57], v[22:23]
	s_waitcnt vmcnt(0) lgkmcnt(1)
	v_mul_f64 v[42:43], v[66:67], v[26:27]
	v_mul_f64 v[73:74], v[64:65], v[26:27]
	;; [unrolled: 1-line block ×4, first 2 shown]
	s_waitcnt lgkmcnt(0)
	v_mul_f64 v[77:78], v[71:72], v[26:27]
	v_fma_f64 v[44:45], v[44:45], v[10:11], -v[81:82]
	v_fma_f64 v[46:47], v[46:47], v[10:11], v[83:84]
	v_mul_f64 v[26:27], v[69:70], v[26:27]
	v_fma_f64 v[48:49], v[48:49], v[10:11], -v[85:86]
	v_fma_f64 v[10:11], v[50:51], v[10:11], v[12:13]
	ds_read_b128 v[0:3], v68
	v_lshlrev_b64 v[8:9], 4, v[52:53]
	v_add_f64 v[79:80], v[14:15], v[30:31]
	v_add_f64 v[81:82], v[28:29], v[32:33]
	v_add_co_u32 v17, s0, s8, v8
	v_add_f64 v[12:13], v[34:35], v[38:39]
	v_add_f64 v[50:51], v[36:37], v[40:41]
	v_fma_f64 v[56:57], v[56:57], v[20:21], -v[4:5]
	v_fma_f64 v[58:59], v[58:59], v[20:21], v[6:7]
	ds_read_b128 v[4:7], v68 offset:2496
	v_fma_f64 v[42:43], v[64:65], v[24:25], -v[42:43]
	v_fma_f64 v[64:65], v[66:67], v[24:25], v[73:74]
	v_fma_f64 v[60:61], v[60:61], v[20:21], -v[75:76]
	v_fma_f64 v[20:21], v[62:63], v[20:21], v[22:23]
	v_fma_f64 v[22:23], v[69:70], v[24:25], -v[77:78]
	v_add_f64 v[62:63], v[14:15], -v[30:31]
	v_add_f64 v[66:67], v[28:29], -v[32:33]
	v_fma_f64 v[24:25], v[71:72], v[24:25], v[26:27]
	v_add_f64 v[26:27], v[36:37], -v[40:41]
	v_add_f64 v[71:72], v[34:35], -v[38:39]
	v_add_f64 v[28:29], v[44:45], v[28:29]
	v_add_f64 v[14:15], v[46:47], v[14:15]
	v_fma_f64 v[69:70], v[79:80], -0.5, v[46:47]
	v_fma_f64 v[73:74], v[81:82], -0.5, v[44:45]
	v_add_f64 v[34:35], v[48:49], v[34:35]
	v_add_co_ci_u32_e64 v53, s0, s9, v9, s0
	v_fma_f64 v[12:13], v[12:13], -0.5, v[48:49]
	v_fma_f64 v[50:51], v[50:51], -0.5, v[10:11]
	s_waitcnt lgkmcnt(1)
	v_add_f64 v[81:82], v[0:1], v[56:57]
	v_add_f64 v[10:11], v[10:11], v[36:37]
	v_add_co_u32 v75, s0, 0x3800, v17
	v_add_f64 v[79:80], v[56:57], v[42:43]
	v_add_f64 v[83:84], v[58:59], v[64:65]
	v_add_f64 v[85:86], v[58:59], -v[64:65]
	v_add_f64 v[87:88], v[60:61], v[22:23]
	v_add_f64 v[58:59], v[2:3], v[58:59]
	s_waitcnt lgkmcnt(0)
	v_add_f64 v[44:45], v[4:5], v[60:61]
	v_add_f64 v[46:47], v[6:7], v[20:21]
	v_add_f64 v[56:57], v[56:57], -v[42:43]
	v_add_f64 v[36:37], v[60:61], -v[22:23]
	v_add_f64 v[28:29], v[28:29], v[32:33]
	v_add_f64 v[14:15], v[14:15], v[30:31]
	v_fma_f64 v[89:90], v[66:67], s[4:5], v[69:70]
	v_fma_f64 v[91:92], v[62:63], s[4:5], v[73:74]
	;; [unrolled: 1-line block ×4, first 2 shown]
	v_add_f64 v[69:70], v[20:21], v[24:25]
	v_fma_f64 v[93:94], v[26:27], s[4:5], v[12:13]
	v_fma_f64 v[73:74], v[71:72], s[4:5], v[50:51]
	;; [unrolled: 1-line block ×4, first 2 shown]
	v_add_f64 v[20:21], v[20:21], -v[24:25]
	v_add_f64 v[42:43], v[81:82], v[42:43]
	v_fma_f64 v[0:1], v[79:80], -0.5, v[0:1]
	v_fma_f64 v[2:3], v[83:84], -0.5, v[2:3]
	v_add_f64 v[30:31], v[34:35], v[38:39]
	v_fma_f64 v[4:5], v[87:88], -0.5, v[4:5]
	v_add_f64 v[58:59], v[58:59], v[64:65]
	v_add_f64 v[22:23], v[44:45], v[22:23]
	;; [unrolled: 1-line block ×4, first 2 shown]
	v_add_co_ci_u32_e64 v76, s0, 0, v53, s0
	v_add_co_u32 v77, s0, 0x4000, v17
	v_mul_f64 v[48:49], v[89:90], s[6:7]
	v_mul_f64 v[50:51], v[91:92], -0.5
	v_mul_f64 v[60:61], v[62:63], s[4:5]
	v_mul_f64 v[71:72], v[66:67], -0.5
	v_fma_f64 v[6:7], v[69:70], -0.5, v[6:7]
	v_mul_f64 v[64:65], v[73:74], s[6:7]
	v_mul_f64 v[79:80], v[12:13], s[4:5]
	v_mul_f64 v[69:70], v[93:94], -0.5
	v_mul_f64 v[81:82], v[26:27], -0.5
	v_add_co_ci_u32_e64 v78, s0, 0, v53, s0
	v_fma_f64 v[34:35], v[85:86], s[6:7], v[0:1]
	v_fma_f64 v[40:41], v[56:57], s[4:5], v[2:3]
	;; [unrolled: 1-line block ×6, first 2 shown]
	v_add_f64 v[0:1], v[42:43], v[28:29]
	v_add_f64 v[2:3], v[58:59], v[14:15]
	v_add_f64 v[4:5], v[42:43], -v[28:29]
	v_add_f64 v[10:11], v[22:23], v[30:31]
	v_add_f64 v[20:21], v[22:23], -v[30:31]
	v_fma_f64 v[46:47], v[62:63], 0.5, v[48:49]
	v_fma_f64 v[48:49], v[66:67], s[6:7], v[50:51]
	v_fma_f64 v[50:51], v[89:90], 0.5, v[60:61]
	v_fma_f64 v[60:61], v[91:92], s[4:5], v[71:72]
	v_fma_f64 v[62:63], v[36:37], s[4:5], v[6:7]
	v_fma_f64 v[64:65], v[12:13], 0.5, v[64:65]
	v_fma_f64 v[71:72], v[73:74], 0.5, v[79:80]
	v_fma_f64 v[66:67], v[36:37], s[6:7], v[6:7]
	v_fma_f64 v[69:70], v[26:27], s[6:7], v[69:70]
	v_fma_f64 v[73:74], v[93:94], s[4:5], v[81:82]
	v_add_f64 v[6:7], v[58:59], -v[14:15]
	v_add_f64 v[12:13], v[24:25], v[32:33]
	v_add_f64 v[22:23], v[24:25], -v[32:33]
	v_add_co_u32 v79, s0, 0x4800, v17
	v_add_co_ci_u32_e64 v80, s0, 0, v53, s0
	v_add_co_u32 v14, s0, 0x5000, v17
	v_add_co_ci_u32_e64 v15, s0, 0, v53, s0
	v_add_f64 v[24:25], v[34:35], v[46:47]
	v_add_f64 v[28:29], v[38:39], v[48:49]
	;; [unrolled: 1-line block ×4, first 2 shown]
	v_add_f64 v[32:33], v[34:35], -v[46:47]
	v_add_f64 v[34:35], v[40:41], -v[50:51]
	;; [unrolled: 1-line block ×4, first 2 shown]
	v_add_f64 v[40:41], v[56:57], v[64:65]
	v_add_f64 v[42:43], v[62:63], v[71:72]
	;; [unrolled: 1-line block ×4, first 2 shown]
	v_add_f64 v[48:49], v[56:57], -v[64:65]
	v_add_f64 v[50:51], v[62:63], -v[71:72]
	;; [unrolled: 1-line block ×4, first 2 shown]
	v_add_co_u32 v60, s0, 0x6000, v17
	v_add_co_ci_u32_e64 v61, s0, 0, v53, s0
	s_barrier
	buffer_gl0_inv
	ds_write_b128 v68, v[0:3]
	ds_write_b128 v68, v[4:7] offset:7488
	ds_write_b128 v68, v[10:13] offset:14976
	ds_write_b128 v68, v[20:23] offset:22464
	ds_write_b128 v68, v[24:27] offset:2496
	ds_write_b128 v68, v[28:31] offset:4992
	ds_write_b128 v68, v[32:35] offset:9984
	ds_write_b128 v68, v[36:39] offset:12480
	ds_write_b128 v68, v[40:43] offset:17472
	ds_write_b128 v68, v[44:47] offset:19968
	ds_write_b128 v68, v[48:51] offset:24960
	ds_write_b128 v68, v[56:59] offset:27456
	v_add_co_u32 v28, s0, 0x6800, v17
	s_waitcnt lgkmcnt(0)
	s_barrier
	buffer_gl0_inv
	s_clause 0x2
	global_load_dwordx4 v[0:3], v[75:76], off offset:432
	global_load_dwordx4 v[4:7], v[77:78], off offset:880
	global_load_dwordx4 v[10:13], v[79:80], off offset:1328
	v_add_co_ci_u32_e64 v29, s0, 0, v53, s0
	s_clause 0x2
	global_load_dwordx4 v[20:23], v[14:15], off offset:1776
	global_load_dwordx4 v[24:27], v[60:61], off offset:176
	;; [unrolled: 1-line block ×3, first 2 shown]
	ds_read_b128 v[32:35], v68 offset:14976
	ds_read_b128 v[36:39], v68 offset:17472
	;; [unrolled: 1-line block ×6, first 2 shown]
	s_addc_u32 s4, s9, 0
	s_mov_b32 s5, exec_lo
	s_waitcnt vmcnt(5) lgkmcnt(5)
	v_mul_f64 v[73:74], v[34:35], v[2:3]
	v_mul_f64 v[2:3], v[32:33], v[2:3]
	s_waitcnt vmcnt(4) lgkmcnt(4)
	v_mul_f64 v[75:76], v[38:39], v[6:7]
	v_mul_f64 v[6:7], v[36:37], v[6:7]
	;; [unrolled: 3-line block ×6, first 2 shown]
	ds_read_b128 v[12:15], v68
	ds_read_b128 v[60:63], v68 offset:2496
	ds_read_b128 v[64:67], v68 offset:4992
	;; [unrolled: 1-line block ×3, first 2 shown]
	v_fma_f64 v[32:33], v[32:33], v[0:1], -v[73:74]
	v_fma_f64 v[34:35], v[34:35], v[0:1], v[2:3]
	v_fma_f64 v[36:37], v[36:37], v[4:5], -v[75:76]
	v_fma_f64 v[38:39], v[38:39], v[4:5], v[6:7]
	;; [unrolled: 2-line block ×6, first 2 shown]
	ds_read_b128 v[0:3], v68 offset:9984
	ds_read_b128 v[4:7], v68 offset:12480
	s_waitcnt lgkmcnt(0)
	s_barrier
	buffer_gl0_inv
	v_add_f64 v[20:21], v[12:13], -v[32:33]
	v_add_f64 v[22:23], v[14:15], -v[34:35]
	;; [unrolled: 1-line block ×12, first 2 shown]
	v_fma_f64 v[10:11], v[12:13], 2.0, -v[20:21]
	v_fma_f64 v[12:13], v[14:15], 2.0, -v[22:23]
	;; [unrolled: 1-line block ×12, first 2 shown]
	ds_write_b128 v68, v[20:23] offset:14976
	ds_write_b128 v68, v[24:27] offset:17472
	;; [unrolled: 1-line block ×6, first 2 shown]
	ds_write_b128 v68, v[10:13]
	ds_write_b128 v68, v[44:47] offset:2496
	ds_write_b128 v68, v[48:51] offset:4992
	;; [unrolled: 1-line block ×5, first 2 shown]
	s_waitcnt lgkmcnt(0)
	s_barrier
	buffer_gl0_inv
	ds_read_b128 v[4:7], v68
	v_lshlrev_b32_e32 v0, 4, v52
                                        ; implicit-def: $vgpr10_vgpr11
                                        ; implicit-def: $vgpr12_vgpr13
	v_sub_nc_u32_e32 v14, 0, v0
                                        ; implicit-def: $vgpr0_vgpr1
	v_cmpx_ne_u32_e32 0, v52
	s_xor_b32 s5, exec_lo, s5
	s_cbranch_execz .LBB0_15
; %bb.14:
	v_add_co_u32 v0, s0, s1, v8
	v_add_co_ci_u32_e64 v1, s0, s4, v9, s0
	global_load_dwordx4 v[20:23], v[0:1], off
	ds_read_b128 v[0:3], v14 offset:29952
	s_waitcnt lgkmcnt(0)
	v_add_f64 v[10:11], v[4:5], -v[0:1]
	v_add_f64 v[12:13], v[6:7], v[2:3]
	v_add_f64 v[2:3], v[6:7], -v[2:3]
	v_add_f64 v[0:1], v[4:5], v[0:1]
	v_mul_f64 v[6:7], v[10:11], 0.5
	v_mul_f64 v[4:5], v[12:13], 0.5
	;; [unrolled: 1-line block ×3, first 2 shown]
	s_waitcnt vmcnt(0)
	v_mul_f64 v[10:11], v[6:7], v[22:23]
	v_fma_f64 v[12:13], v[4:5], v[22:23], v[2:3]
	v_fma_f64 v[2:3], v[4:5], v[22:23], -v[2:3]
	v_fma_f64 v[24:25], v[0:1], 0.5, v[10:11]
	v_fma_f64 v[0:1], v[0:1], 0.5, -v[10:11]
	v_fma_f64 v[12:13], -v[20:21], v[6:7], v[12:13]
	v_fma_f64 v[2:3], -v[20:21], v[6:7], v[2:3]
	v_fma_f64 v[10:11], v[4:5], v[20:21], v[24:25]
	v_fma_f64 v[0:1], -v[4:5], v[20:21], v[0:1]
                                        ; implicit-def: $vgpr4_vgpr5
.LBB0_15:
	s_andn2_saveexec_b32 s0, s5
	s_cbranch_execz .LBB0_17
; %bb.16:
	v_mov_b32_e32 v15, 0
	s_waitcnt lgkmcnt(0)
	v_add_f64 v[10:11], v[4:5], v[6:7]
	v_add_f64 v[0:1], v[4:5], -v[6:7]
	v_mov_b32_e32 v12, 0
	v_mov_b32_e32 v13, 0
	ds_read_b64 v[20:21], v15 offset:14984
	v_mov_b32_e32 v2, v12
	v_mov_b32_e32 v3, v13
	s_waitcnt lgkmcnt(0)
	v_xor_b32_e32 v21, 0x80000000, v21
	ds_write_b64 v15, v[20:21] offset:14984
.LBB0_17:
	s_or_b32 exec_lo, exec_lo, s0
	v_mov_b32_e32 v17, 0
	ds_write2_b64 v68, v[10:11], v[12:13] offset1:1
	ds_write_b128 v14, v[0:3] offset:29952
	s_waitcnt lgkmcnt(2)
	v_lshlrev_b64 v[4:5], 4, v[16:17]
	v_mov_b32_e32 v20, v17
	v_lshlrev_b64 v[15:16], 4, v[19:20]
	v_add_co_u32 v4, s0, s1, v4
	v_add_co_ci_u32_e64 v5, s0, s4, v5, s0
	v_mov_b32_e32 v19, v17
	v_add_co_u32 v15, s0, s1, v15
	global_load_dwordx4 v[4:7], v[4:5], off
	v_add_co_ci_u32_e64 v16, s0, s4, v16, s0
	global_load_dwordx4 v[20:23], v[15:16], off
	v_lshlrev_b64 v[15:16], 4, v[18:19]
	ds_read_b128 v[0:3], v68 offset:2496
	ds_read_b128 v[10:13], v14 offset:27456
	v_add_co_u32 v15, s0, s1, v15
	v_add_co_ci_u32_e64 v16, s0, s4, v16, s0
	global_load_dwordx4 v[24:27], v[15:16], off
	s_waitcnt lgkmcnt(0)
	v_add_f64 v[15:16], v[0:1], -v[10:11]
	v_add_f64 v[18:19], v[2:3], v[12:13]
	v_add_f64 v[2:3], v[2:3], -v[12:13]
	v_add_f64 v[0:1], v[0:1], v[10:11]
	v_mul_f64 v[12:13], v[15:16], 0.5
	v_mul_f64 v[15:16], v[18:19], 0.5
	;; [unrolled: 1-line block ×3, first 2 shown]
	s_waitcnt vmcnt(2)
	v_mul_f64 v[10:11], v[12:13], v[6:7]
	v_fma_f64 v[18:19], v[15:16], v[6:7], v[2:3]
	v_fma_f64 v[2:3], v[15:16], v[6:7], -v[2:3]
	v_fma_f64 v[6:7], v[0:1], 0.5, v[10:11]
	v_fma_f64 v[0:1], v[0:1], 0.5, -v[10:11]
	v_fma_f64 v[10:11], -v[4:5], v[12:13], v[18:19]
	v_fma_f64 v[2:3], -v[4:5], v[12:13], v[2:3]
	v_fma_f64 v[6:7], v[15:16], v[4:5], v[6:7]
	v_fma_f64 v[0:1], -v[15:16], v[4:5], v[0:1]
	v_add_nc_u32_e32 v4, 0x270, v52
	v_mov_b32_e32 v5, v17
	v_add_nc_u32_e32 v15, 0x800, v68
	ds_write2_b64 v15, v[6:7], v[10:11] offset0:56 offset1:57
	ds_write_b128 v14, v[0:3] offset:27456
	v_lshlrev_b64 v[12:13], 4, v[4:5]
	ds_read_b128 v[0:3], v68 offset:4992
	ds_read_b128 v[4:7], v14 offset:24960
	v_add_co_u32 v10, s0, s1, v12
	v_add_co_ci_u32_e64 v11, s0, s4, v13, s0
	global_load_dwordx4 v[10:13], v[10:11], off
	s_waitcnt lgkmcnt(0)
	v_add_f64 v[15:16], v[0:1], -v[4:5]
	v_add_f64 v[18:19], v[2:3], v[6:7]
	v_add_f64 v[2:3], v[2:3], -v[6:7]
	v_add_f64 v[0:1], v[0:1], v[4:5]
	v_mul_f64 v[6:7], v[15:16], 0.5
	v_mul_f64 v[15:16], v[18:19], 0.5
	;; [unrolled: 1-line block ×3, first 2 shown]
	s_waitcnt vmcnt(2)
	v_mul_f64 v[4:5], v[6:7], v[22:23]
	v_fma_f64 v[18:19], v[15:16], v[22:23], v[2:3]
	v_fma_f64 v[2:3], v[15:16], v[22:23], -v[2:3]
	v_fma_f64 v[22:23], v[0:1], 0.5, v[4:5]
	v_fma_f64 v[0:1], v[0:1], 0.5, -v[4:5]
	v_fma_f64 v[4:5], -v[20:21], v[6:7], v[18:19]
	v_fma_f64 v[2:3], -v[20:21], v[6:7], v[2:3]
	v_add_nc_u32_e32 v18, 0x1000, v68
	v_fma_f64 v[6:7], v[15:16], v[20:21], v[22:23]
	v_fma_f64 v[0:1], -v[15:16], v[20:21], v[0:1]
	v_add_nc_u32_e32 v16, 0x30c, v52
	ds_write2_b64 v18, v[6:7], v[4:5] offset0:112 offset1:113
	ds_write_b128 v14, v[0:3] offset:24960
	v_lshlrev_b64 v[15:16], 4, v[16:17]
	ds_read_b128 v[0:3], v68 offset:7488
	ds_read_b128 v[4:7], v14 offset:22464
	v_add_co_u32 v15, s0, s1, v15
	v_add_co_ci_u32_e64 v16, s0, s4, v16, s0
	global_load_dwordx4 v[15:18], v[15:16], off
	s_waitcnt lgkmcnt(0)
	v_add_f64 v[19:20], v[0:1], -v[4:5]
	v_add_f64 v[21:22], v[2:3], v[6:7]
	v_add_f64 v[2:3], v[2:3], -v[6:7]
	v_add_f64 v[0:1], v[0:1], v[4:5]
	v_mul_f64 v[6:7], v[19:20], 0.5
	v_mul_f64 v[19:20], v[21:22], 0.5
	;; [unrolled: 1-line block ×3, first 2 shown]
	s_waitcnt vmcnt(2)
	v_mul_f64 v[4:5], v[6:7], v[26:27]
	v_fma_f64 v[21:22], v[19:20], v[26:27], v[2:3]
	v_fma_f64 v[2:3], v[19:20], v[26:27], -v[2:3]
	v_fma_f64 v[26:27], v[0:1], 0.5, v[4:5]
	v_fma_f64 v[0:1], v[0:1], 0.5, -v[4:5]
	v_fma_f64 v[4:5], -v[24:25], v[6:7], v[21:22]
	v_fma_f64 v[2:3], -v[24:25], v[6:7], v[2:3]
	v_fma_f64 v[6:7], v[19:20], v[24:25], v[26:27]
	v_fma_f64 v[0:1], -v[19:20], v[24:25], v[0:1]
	v_add_nc_u32_e32 v19, 0x1800, v68
	ds_write2_b64 v19, v[6:7], v[4:5] offset0:168 offset1:169
	ds_write_b128 v14, v[0:3] offset:22464
	ds_read_b128 v[0:3], v68 offset:9984
	ds_read_b128 v[4:7], v14 offset:19968
	s_waitcnt lgkmcnt(0)
	v_add_f64 v[19:20], v[0:1], -v[4:5]
	v_add_f64 v[21:22], v[2:3], v[6:7]
	v_add_f64 v[2:3], v[2:3], -v[6:7]
	v_add_f64 v[0:1], v[0:1], v[4:5]
	v_mul_f64 v[6:7], v[19:20], 0.5
	v_mul_f64 v[19:20], v[21:22], 0.5
	;; [unrolled: 1-line block ×3, first 2 shown]
	s_waitcnt vmcnt(1)
	v_mul_f64 v[4:5], v[6:7], v[12:13]
	v_fma_f64 v[21:22], v[19:20], v[12:13], v[2:3]
	v_fma_f64 v[2:3], v[19:20], v[12:13], -v[2:3]
	v_fma_f64 v[12:13], v[0:1], 0.5, v[4:5]
	v_fma_f64 v[0:1], v[0:1], 0.5, -v[4:5]
	v_fma_f64 v[4:5], -v[10:11], v[6:7], v[21:22]
	v_fma_f64 v[2:3], -v[10:11], v[6:7], v[2:3]
	v_fma_f64 v[6:7], v[19:20], v[10:11], v[12:13]
	v_fma_f64 v[0:1], -v[19:20], v[10:11], v[0:1]
	v_add_nc_u32_e32 v10, 0x2000, v68
	ds_write2_b64 v10, v[6:7], v[4:5] offset0:224 offset1:225
	ds_write_b128 v14, v[0:3] offset:19968
	ds_read_b128 v[0:3], v68 offset:12480
	ds_read_b128 v[4:7], v14 offset:17472
	s_waitcnt lgkmcnt(0)
	v_add_f64 v[10:11], v[0:1], -v[4:5]
	v_add_f64 v[12:13], v[2:3], v[6:7]
	v_add_f64 v[2:3], v[2:3], -v[6:7]
	v_add_f64 v[0:1], v[0:1], v[4:5]
	v_mul_f64 v[6:7], v[10:11], 0.5
	v_mul_f64 v[10:11], v[12:13], 0.5
	;; [unrolled: 1-line block ×3, first 2 shown]
	s_waitcnt vmcnt(0)
	v_mul_f64 v[4:5], v[6:7], v[17:18]
	v_fma_f64 v[12:13], v[10:11], v[17:18], v[2:3]
	v_fma_f64 v[2:3], v[10:11], v[17:18], -v[2:3]
	v_fma_f64 v[17:18], v[0:1], 0.5, v[4:5]
	v_fma_f64 v[0:1], v[0:1], 0.5, -v[4:5]
	v_fma_f64 v[4:5], -v[15:16], v[6:7], v[12:13]
	v_fma_f64 v[2:3], -v[15:16], v[6:7], v[2:3]
	v_fma_f64 v[6:7], v[10:11], v[15:16], v[17:18]
	v_fma_f64 v[0:1], -v[10:11], v[15:16], v[0:1]
	v_add_nc_u32_e32 v10, 0x3000, v68
	ds_write2_b64 v10, v[6:7], v[4:5] offset0:24 offset1:25
	ds_write_b128 v14, v[0:3] offset:17472
	s_waitcnt lgkmcnt(0)
	s_barrier
	buffer_gl0_inv
	s_and_saveexec_b32 s0, vcc_lo
	s_cbranch_execz .LBB0_20
; %bb.18:
	ds_read_b128 v[2:5], v68
	ds_read_b128 v[10:13], v68 offset:2496
	ds_read_b128 v[14:17], v68 offset:4992
	v_add_co_u32 v0, vcc_lo, s2, v54
	v_add_co_ci_u32_e32 v1, vcc_lo, s3, v55, vcc_lo
	v_add_co_u32 v22, vcc_lo, v0, v8
	v_add_co_ci_u32_e32 v23, vcc_lo, v1, v9, vcc_lo
	;; [unrolled: 2-line block ×4, first 2 shown]
	s_waitcnt lgkmcnt(2)
	global_store_dwordx4 v[22:23], v[2:5], off
	s_waitcnt lgkmcnt(1)
	global_store_dwordx4 v[6:7], v[10:13], off offset:448
	ds_read_b128 v[2:5], v68 offset:7488
	v_add_co_u32 v24, vcc_lo, 0x1800, v22
	s_waitcnt lgkmcnt(1)
	global_store_dwordx4 v[8:9], v[14:17], off offset:896
	ds_read_b128 v[6:9], v68 offset:9984
	ds_read_b128 v[10:13], v68 offset:12480
	;; [unrolled: 1-line block ×4, first 2 shown]
	v_add_co_ci_u32_e32 v25, vcc_lo, 0, v23, vcc_lo
	v_add_co_u32 v26, vcc_lo, 0x2000, v22
	v_add_co_ci_u32_e32 v27, vcc_lo, 0, v23, vcc_lo
	v_add_co_u32 v28, vcc_lo, 0x3000, v22
	;; [unrolled: 2-line block ×4, first 2 shown]
	v_add_co_ci_u32_e32 v33, vcc_lo, 0, v23, vcc_lo
	s_waitcnt lgkmcnt(4)
	global_store_dwordx4 v[24:25], v[2:5], off offset:1344
	s_waitcnt lgkmcnt(3)
	global_store_dwordx4 v[26:27], v[6:9], off offset:1792
	s_waitcnt lgkmcnt(2)
	global_store_dwordx4 v[28:29], v[10:13], off offset:192
	s_waitcnt lgkmcnt(1)
	global_store_dwordx4 v[30:31], v[14:17], off offset:640
	s_waitcnt lgkmcnt(0)
	global_store_dwordx4 v[32:33], v[18:21], off offset:1088
	ds_read_b128 v[2:5], v68 offset:19968
	ds_read_b128 v[6:9], v68 offset:22464
	;; [unrolled: 1-line block ×4, first 2 shown]
	v_add_co_u32 v18, vcc_lo, 0x4800, v22
	v_add_co_ci_u32_e32 v19, vcc_lo, 0, v23, vcc_lo
	v_add_co_u32 v20, vcc_lo, 0x5000, v22
	v_add_co_ci_u32_e32 v21, vcc_lo, 0, v23, vcc_lo
	;; [unrolled: 2-line block ×4, first 2 shown]
	v_cmp_eq_u32_e32 vcc_lo, 0x9b, v52
	s_waitcnt lgkmcnt(3)
	global_store_dwordx4 v[18:19], v[2:5], off offset:1536
	s_waitcnt lgkmcnt(2)
	global_store_dwordx4 v[20:21], v[6:9], off offset:1984
	;; [unrolled: 2-line block ×4, first 2 shown]
	s_and_b32 exec_lo, exec_lo, vcc_lo
	s_cbranch_execz .LBB0_20
; %bb.19:
	v_mov_b32_e32 v2, 0
	v_add_co_u32 v0, vcc_lo, 0x7000, v0
	v_add_co_ci_u32_e32 v1, vcc_lo, 0, v1, vcc_lo
	ds_read_b128 v[2:5], v2 offset:29952
	s_waitcnt lgkmcnt(0)
	global_store_dwordx4 v[0:1], v[2:5], off offset:1280
.LBB0_20:
	s_endpgm
	.section	.rodata,"a",@progbits
	.p2align	6, 0x0
	.amdhsa_kernel fft_rtc_fwd_len1872_factors_13_3_4_6_2_wgs_156_tpt_156_halfLds_dp_ip_CI_unitstride_sbrr_R2C_dirReg
		.amdhsa_group_segment_fixed_size 0
		.amdhsa_private_segment_fixed_size 0
		.amdhsa_kernarg_size 88
		.amdhsa_user_sgpr_count 6
		.amdhsa_user_sgpr_private_segment_buffer 1
		.amdhsa_user_sgpr_dispatch_ptr 0
		.amdhsa_user_sgpr_queue_ptr 0
		.amdhsa_user_sgpr_kernarg_segment_ptr 1
		.amdhsa_user_sgpr_dispatch_id 0
		.amdhsa_user_sgpr_flat_scratch_init 0
		.amdhsa_user_sgpr_private_segment_size 0
		.amdhsa_wavefront_size32 1
		.amdhsa_uses_dynamic_stack 0
		.amdhsa_system_sgpr_private_segment_wavefront_offset 0
		.amdhsa_system_sgpr_workgroup_id_x 1
		.amdhsa_system_sgpr_workgroup_id_y 0
		.amdhsa_system_sgpr_workgroup_id_z 0
		.amdhsa_system_sgpr_workgroup_info 0
		.amdhsa_system_vgpr_workitem_id 0
		.amdhsa_next_free_vgpr 129
		.amdhsa_next_free_sgpr 42
		.amdhsa_reserve_vcc 1
		.amdhsa_reserve_flat_scratch 0
		.amdhsa_float_round_mode_32 0
		.amdhsa_float_round_mode_16_64 0
		.amdhsa_float_denorm_mode_32 3
		.amdhsa_float_denorm_mode_16_64 3
		.amdhsa_dx10_clamp 1
		.amdhsa_ieee_mode 1
		.amdhsa_fp16_overflow 0
		.amdhsa_workgroup_processor_mode 1
		.amdhsa_memory_ordered 1
		.amdhsa_forward_progress 0
		.amdhsa_shared_vgpr_count 0
		.amdhsa_exception_fp_ieee_invalid_op 0
		.amdhsa_exception_fp_denorm_src 0
		.amdhsa_exception_fp_ieee_div_zero 0
		.amdhsa_exception_fp_ieee_overflow 0
		.amdhsa_exception_fp_ieee_underflow 0
		.amdhsa_exception_fp_ieee_inexact 0
		.amdhsa_exception_int_div_zero 0
	.end_amdhsa_kernel
	.text
.Lfunc_end0:
	.size	fft_rtc_fwd_len1872_factors_13_3_4_6_2_wgs_156_tpt_156_halfLds_dp_ip_CI_unitstride_sbrr_R2C_dirReg, .Lfunc_end0-fft_rtc_fwd_len1872_factors_13_3_4_6_2_wgs_156_tpt_156_halfLds_dp_ip_CI_unitstride_sbrr_R2C_dirReg
                                        ; -- End function
	.section	.AMDGPU.csdata,"",@progbits
; Kernel info:
; codeLenInByte = 12364
; NumSgprs: 44
; NumVgprs: 129
; ScratchSize: 0
; MemoryBound: 0
; FloatMode: 240
; IeeeMode: 1
; LDSByteSize: 0 bytes/workgroup (compile time only)
; SGPRBlocks: 5
; VGPRBlocks: 16
; NumSGPRsForWavesPerEU: 44
; NumVGPRsForWavesPerEU: 129
; Occupancy: 7
; WaveLimiterHint : 1
; COMPUTE_PGM_RSRC2:SCRATCH_EN: 0
; COMPUTE_PGM_RSRC2:USER_SGPR: 6
; COMPUTE_PGM_RSRC2:TRAP_HANDLER: 0
; COMPUTE_PGM_RSRC2:TGID_X_EN: 1
; COMPUTE_PGM_RSRC2:TGID_Y_EN: 0
; COMPUTE_PGM_RSRC2:TGID_Z_EN: 0
; COMPUTE_PGM_RSRC2:TIDIG_COMP_CNT: 0
	.text
	.p2alignl 6, 3214868480
	.fill 48, 4, 3214868480
	.type	__hip_cuid_e25f9a459cc987b8,@object ; @__hip_cuid_e25f9a459cc987b8
	.section	.bss,"aw",@nobits
	.globl	__hip_cuid_e25f9a459cc987b8
__hip_cuid_e25f9a459cc987b8:
	.byte	0                               ; 0x0
	.size	__hip_cuid_e25f9a459cc987b8, 1

	.ident	"AMD clang version 19.0.0git (https://github.com/RadeonOpenCompute/llvm-project roc-6.4.0 25133 c7fe45cf4b819c5991fe208aaa96edf142730f1d)"
	.section	".note.GNU-stack","",@progbits
	.addrsig
	.addrsig_sym __hip_cuid_e25f9a459cc987b8
	.amdgpu_metadata
---
amdhsa.kernels:
  - .args:
      - .actual_access:  read_only
        .address_space:  global
        .offset:         0
        .size:           8
        .value_kind:     global_buffer
      - .offset:         8
        .size:           8
        .value_kind:     by_value
      - .actual_access:  read_only
        .address_space:  global
        .offset:         16
        .size:           8
        .value_kind:     global_buffer
      - .actual_access:  read_only
        .address_space:  global
        .offset:         24
        .size:           8
        .value_kind:     global_buffer
      - .offset:         32
        .size:           8
        .value_kind:     by_value
      - .actual_access:  read_only
        .address_space:  global
        .offset:         40
        .size:           8
        .value_kind:     global_buffer
      - .actual_access:  read_only
        .address_space:  global
        .offset:         48
        .size:           8
        .value_kind:     global_buffer
      - .offset:         56
        .size:           4
        .value_kind:     by_value
      - .actual_access:  read_only
        .address_space:  global
        .offset:         64
        .size:           8
        .value_kind:     global_buffer
      - .actual_access:  read_only
        .address_space:  global
        .offset:         72
        .size:           8
        .value_kind:     global_buffer
      - .address_space:  global
        .offset:         80
        .size:           8
        .value_kind:     global_buffer
    .group_segment_fixed_size: 0
    .kernarg_segment_align: 8
    .kernarg_segment_size: 88
    .language:       OpenCL C
    .language_version:
      - 2
      - 0
    .max_flat_workgroup_size: 156
    .name:           fft_rtc_fwd_len1872_factors_13_3_4_6_2_wgs_156_tpt_156_halfLds_dp_ip_CI_unitstride_sbrr_R2C_dirReg
    .private_segment_fixed_size: 0
    .sgpr_count:     44
    .sgpr_spill_count: 0
    .symbol:         fft_rtc_fwd_len1872_factors_13_3_4_6_2_wgs_156_tpt_156_halfLds_dp_ip_CI_unitstride_sbrr_R2C_dirReg.kd
    .uniform_work_group_size: 1
    .uses_dynamic_stack: false
    .vgpr_count:     129
    .vgpr_spill_count: 0
    .wavefront_size: 32
    .workgroup_processor_mode: 1
amdhsa.target:   amdgcn-amd-amdhsa--gfx1030
amdhsa.version:
  - 1
  - 2
...

	.end_amdgpu_metadata
